;; amdgpu-corpus repo=ROCm/rocFFT kind=compiled arch=gfx950 opt=O3
	.text
	.amdgcn_target "amdgcn-amd-amdhsa--gfx950"
	.amdhsa_code_object_version 6
	.protected	fft_rtc_fwd_len4096_factors_8_16_4_8_wgs_256_tpt_128_halfLds_dim3_sp_op_CI_CI_sbrr_dirReg ; -- Begin function fft_rtc_fwd_len4096_factors_8_16_4_8_wgs_256_tpt_128_halfLds_dim3_sp_op_CI_CI_sbrr_dirReg
	.globl	fft_rtc_fwd_len4096_factors_8_16_4_8_wgs_256_tpt_128_halfLds_dim3_sp_op_CI_CI_sbrr_dirReg
	.p2align	8
	.type	fft_rtc_fwd_len4096_factors_8_16_4_8_wgs_256_tpt_128_halfLds_dim3_sp_op_CI_CI_sbrr_dirReg,@function
fft_rtc_fwd_len4096_factors_8_16_4_8_wgs_256_tpt_128_halfLds_dim3_sp_op_CI_CI_sbrr_dirReg: ; @fft_rtc_fwd_len4096_factors_8_16_4_8_wgs_256_tpt_128_halfLds_dim3_sp_op_CI_CI_sbrr_dirReg
; %bb.0:
	s_load_dwordx2 s[6:7], s[0:1], 0x8
	v_lshrrev_b32_e32 v1, 7, v0
	v_mov_b32_e32 v5, 0
	v_mov_b64_e32 v[2:3], 0
	v_lshl_or_b32 v4, s2, 1, v1
	s_waitcnt lgkmcnt(0)
	s_load_dwordx2 s[4:5], s[6:7], 0x8
	v_mov_b64_e32 v[6:7], v[2:3]
	s_waitcnt lgkmcnt(0)
	v_cmp_le_u64_e32 vcc, s[4:5], v[4:5]
	s_and_saveexec_b64 s[2:3], vcc
	s_cbranch_execz .LBB0_2
; %bb.1:
	v_cvt_f32_u32_e32 v6, s4
	s_sub_i32 s8, 0, s4
	v_rcp_iflag_f32_e32 v6, v6
	s_nop 0
	v_mul_f32_e32 v6, 0x4f7ffffe, v6
	v_cvt_u32_f32_e32 v6, v6
	v_mul_lo_u32 v7, s8, v6
	v_mul_hi_u32 v7, v6, v7
	v_add_u32_e32 v6, v6, v7
	v_mul_hi_u32 v6, v4, v6
	v_mul_lo_u32 v7, v6, s4
	v_sub_u32_e32 v7, v4, v7
	v_add_u32_e32 v8, 1, v6
	v_subrev_u32_e32 v9, s4, v7
	v_cmp_le_u32_e32 vcc, s4, v7
	s_nop 1
	v_cndmask_b32_e32 v7, v7, v9, vcc
	v_cndmask_b32_e32 v6, v6, v8, vcc
	v_add_u32_e32 v8, 1, v6
	v_cmp_le_u32_e32 vcc, s4, v7
	v_mov_b32_e32 v7, v5
	s_nop 0
	v_cndmask_b32_e32 v6, v6, v8, vcc
.LBB0_2:
	s_or_b64 exec, exec, s[2:3]
	s_load_dwordx2 s[2:3], s[6:7], 0x10
	s_waitcnt lgkmcnt(0)
	v_cmp_le_u64_e32 vcc, s[2:3], v[6:7]
	s_and_saveexec_b64 s[6:7], vcc
	s_cbranch_execz .LBB0_4
; %bb.3:
	v_cvt_f32_u32_e32 v2, s2
	s_sub_i32 s8, 0, s2
	v_rcp_iflag_f32_e32 v2, v2
	s_nop 0
	v_mul_f32_e32 v2, 0x4f7ffffe, v2
	v_cvt_u32_f32_e32 v2, v2
	v_mul_lo_u32 v3, s8, v2
	v_mul_hi_u32 v3, v2, v3
	v_add_u32_e32 v2, v2, v3
	v_mul_hi_u32 v2, v6, v2
	v_mul_lo_u32 v3, v2, s2
	v_sub_u32_e32 v3, v6, v3
	v_add_u32_e32 v5, 1, v2
	v_subrev_u32_e32 v8, s2, v3
	v_cmp_le_u32_e32 vcc, s2, v3
	s_nop 1
	v_cndmask_b32_e32 v3, v3, v8, vcc
	v_cndmask_b32_e32 v2, v2, v5, vcc
	v_add_u32_e32 v5, 1, v2
	v_cmp_le_u32_e32 vcc, s2, v3
	v_mov_b32_e32 v3, 0
	s_nop 0
	v_cndmask_b32_e32 v2, v2, v5, vcc
.LBB0_4:
	s_or_b64 exec, exec, s[6:7]
	v_mad_u64_u32 v[8:9], s[6:7], v6, s4, 0
	v_mov_b32_e32 v10, v9
	v_mad_u64_u32 v[10:11], s[4:5], v6, s5, v[10:11]
	v_mov_b32_e32 v5, v10
	v_sub_co_u32_e32 v76, vcc, v4, v8
	s_load_dwordx4 s[12:15], s[0:1], 0x18
	s_load_dwordx2 s[16:17], s[0:1], 0x0
	v_subb_co_u32_e32 v77, vcc, 0, v5, vcc
	v_mad_u64_u32 v[4:5], s[4:5], v2, s2, 0
	v_mov_b32_e32 v8, v5
	v_mad_u64_u32 v[8:9], s[2:3], v2, s3, v[8:9]
	v_mov_b32_e32 v5, v8
	v_sub_co_u32_e32 v80, vcc, v6, v4
	s_waitcnt lgkmcnt(0)
	v_cmp_le_u64_e64 s[2:3], s[14:15], v[2:3]
	v_subb_co_u32_e32 v81, vcc, v7, v5, vcc
	v_cmp_gt_u64_e32 vcc, s[14:15], v[2:3]
                                        ; implicit-def: $sgpr4_sgpr5
                                        ; implicit-def: $vgpr88
                                        ; implicit-def: $vgpr79
                                        ; implicit-def: $vgpr82
                                        ; implicit-def: $vgpr83
                                        ; implicit-def: $vgpr3
                                        ; implicit-def: $vgpr90
                                        ; implicit-def: $vgpr97
                                        ; implicit-def: $vgpr104
                                        ; implicit-def: $vgpr78
                                        ; implicit-def: $vgpr91
                                        ; implicit-def: $vgpr98
                                        ; implicit-def: $vgpr105
                                        ; implicit-def: $vgpr84
                                        ; implicit-def: $vgpr92
                                        ; implicit-def: $vgpr99
                                        ; implicit-def: $vgpr106
                                        ; implicit-def: $vgpr85
                                        ; implicit-def: $vgpr93
                                        ; implicit-def: $vgpr100
                                        ; implicit-def: $vgpr107
                                        ; implicit-def: $vgpr86
                                        ; implicit-def: $vgpr94
                                        ; implicit-def: $vgpr101
                                        ; implicit-def: $vgpr108
                                        ; implicit-def: $vgpr87
                                        ; implicit-def: $vgpr95
                                        ; implicit-def: $vgpr102
                                        ; implicit-def: $vgpr109
                                        ; implicit-def: $vgpr89
                                        ; implicit-def: $vgpr96
                                        ; implicit-def: $vgpr103
                                        ; implicit-def: $vgpr110
	s_and_saveexec_b64 s[6:7], s[2:3]
	s_xor_b64 s[2:3], exec, s[6:7]
	s_cbranch_execz .LBB0_6
; %bb.5:
	v_and_b32_e32 v88, 0x7f, v0
	v_or_b32_e32 v79, 0x80, v88
	v_or_b32_e32 v82, 0x100, v88
	;; [unrolled: 1-line block ×31, first 2 shown]
	s_mov_b64 s[4:5], 0
.LBB0_6:
	s_or_saveexec_b64 s[2:3], s[2:3]
	v_mov_b64_e32 v[4:5], s[4:5]
	v_mov_b64_e32 v[6:7], s[4:5]
	;; [unrolled: 1-line block ×16, first 2 shown]
                                        ; implicit-def: $vgpr8
                                        ; implicit-def: $vgpr15
                                        ; implicit-def: $vgpr36
                                        ; implicit-def: $vgpr9
                                        ; implicit-def: $vgpr43
                                        ; implicit-def: $vgpr44
                                        ; implicit-def: $vgpr64
                                        ; implicit-def: $vgpr73
                                        ; implicit-def: $vgpr68
                                        ; implicit-def: $vgpr65
                                        ; implicit-def: $vgpr49
                                        ; implicit-def: $vgpr34
                                        ; implicit-def: $vgpr67
                                        ; implicit-def: $vgpr46
                                        ; implicit-def: $vgpr35
                                        ; implicit-def: $vgpr57
                                        ; implicit-def: $vgpr50
                                        ; implicit-def: $vgpr16
                                        ; implicit-def: $vgpr41
                                        ; implicit-def: $vgpr60
                                        ; implicit-def: $vgpr17
                                        ; implicit-def: $vgpr75
                                        ; implicit-def: $vgpr62
                                        ; implicit-def: $vgpr70
	s_xor_b64 exec, exec, s[2:3]
	s_cbranch_execz .LBB0_8
; %bb.7:
	s_load_dwordx2 s[4:5], s[0:1], 0x10
	s_load_dwordx2 s[14:15], s[0:1], 0x50
	v_and_b32_e32 v88, 0x7f, v0
	v_or_b32_e32 v78, 0x400, v88
	v_or_b32_e32 v84, 0x600, v88
	s_waitcnt lgkmcnt(0)
	s_load_dwordx8 s[4:11], s[4:5], 0x0
	v_or_b32_e32 v85, 0x800, v88
	v_or_b32_e32 v86, 0xa00, v88
	;; [unrolled: 1-line block ×4, first 2 shown]
	s_waitcnt lgkmcnt(0)
	v_mul_lo_u32 v3, s9, v80
	v_mul_lo_u32 v8, s8, v81
	v_mad_u64_u32 v[4:5], s[8:9], s8, v80, 0
	v_mul_lo_u32 v9, s7, v76
	v_mul_lo_u32 v10, s6, v77
	v_mad_u64_u32 v[6:7], s[6:7], s6, v76, 0
	v_add3_u32 v5, v5, v8, v3
	v_add3_u32 v7, v7, v10, v9
	v_mad_u64_u32 v[8:9], s[6:7], s10, v2, 0
	v_mov_b32_e32 v10, v9
	v_mad_u64_u32 v[10:11], s[6:7], s11, v2, v[10:11]
	v_mov_b32_e32 v9, v10
	v_lshl_add_u64 v[8:9], v[8:9], 3, s[14:15]
	v_lshl_add_u64 v[4:5], v[4:5], 3, v[8:9]
	v_or_b32_e32 v3, 0x200, v88
	v_lshl_add_u64 v[4:5], v[6:7], 3, v[4:5]
	v_mad_u64_u32 v[6:7], s[6:7], s4, v3, 0
	v_mad_u64_u32 v[10:11], s[6:7], s4, v88, 0
	v_mov_b32_e32 v8, v7
	v_mov_b32_e32 v12, v11
	v_mad_u64_u32 v[8:9], s[6:7], s5, v3, v[8:9]
	v_mad_u64_u32 v[12:13], s[6:7], s5, v88, v[12:13]
	v_mov_b32_e32 v7, v8
	v_mad_u64_u32 v[8:9], s[6:7], s4, v78, 0
	v_mov_b32_e32 v11, v12
	v_mov_b32_e32 v12, v9
	v_mad_u64_u32 v[12:13], s[6:7], s5, v78, v[12:13]
	v_mov_b32_e32 v9, v12
	v_mad_u64_u32 v[12:13], s[6:7], s4, v84, 0
	;; [unrolled: 2-line block ×11, first 2 shown]
	v_or_b32_e32 v79, 0x80, v88
	v_mov_b32_e32 v21, v22
	v_mad_u64_u32 v[22:23], s[6:7], s4, v79, 0
	v_mov_b32_e32 v24, v23
	v_mad_u64_u32 v[24:25], s[6:7], s5, v79, v[24:25]
	v_or_b32_e32 v90, 0x280, v88
	v_mov_b32_e32 v23, v24
	v_mad_u64_u32 v[24:25], s[6:7], s4, v90, 0
	v_mov_b32_e32 v26, v25
	v_mad_u64_u32 v[26:27], s[6:7], s5, v90, v[26:27]
	;; [unrolled: 5-line block ×24, first 2 shown]
	v_mov_b32_e32 v69, v70
	v_lshl_add_u64 v[10:11], v[10:11], 3, v[4:5]
	v_lshl_add_u64 v[70:71], v[6:7], 3, v[4:5]
	;; [unrolled: 1-line block ×32, first 2 shown]
	global_load_dwordx2 v[4:5], v[10:11], off
	global_load_dwordx2 v[38:39], v[70:71], off
	;; [unrolled: 1-line block ×12, first 2 shown]
                                        ; kill: killed $vgpr28_vgpr29
                                        ; kill: killed $vgpr22_vgpr23
                                        ; kill: killed $vgpr14_vgpr15
                                        ; kill: killed $vgpr70_vgpr71
                                        ; kill: killed $vgpr112_vgpr113
                                        ; kill: killed $vgpr24_vgpr25
                                        ; kill: killed $vgpr72_vgpr73
                                        ; kill: killed $vgpr74_vgpr75
                                        ; kill: killed $vgpr26_vgpr27
                                        ; kill: killed $vgpr12_vgpr13
                                        ; kill: killed $vgpr10_vgpr11
                                        ; kill: killed $vgpr16_vgpr17
	global_load_dwordx2 v[64:65], v[114:115], off
	global_load_dwordx2 v[68:69], v[32:33], off
	;; [unrolled: 1-line block ×12, first 2 shown]
                                        ; kill: killed $vgpr122_vgpr123
                                        ; kill: killed $vgpr32_vgpr33
                                        ; kill: killed $vgpr130_vgpr131
                                        ; kill: killed $vgpr124_vgpr125
                                        ; kill: killed $vgpr120_vgpr121
                                        ; kill: killed $vgpr114_vgpr115
                                        ; kill: killed $vgpr128_vgpr129
                                        ; kill: killed $vgpr118_vgpr119
                                        ; kill: killed $vgpr126_vgpr127
                                        ; kill: killed $vgpr40_vgpr41
                                        ; kill: killed $vgpr116_vgpr117
                                        ; kill: killed $vgpr132_vgpr133
	global_load_dwordx2 v[12:13], v[134:135], off
	global_load_dwordx2 v[32:33], v[136:137], off
	global_load_dwordx2 v[10:11], v[138:139], off
	global_load_dwordx2 v[26:27], v[140:141], off
	global_load_dwordx2 v[16:17], v[142:143], off
	global_load_dwordx2 v[60:61], v[144:145], off
	global_load_dwordx2 v[74:75], v[66:67], off
	global_load_dwordx2 v[62:63], v[146:147], off
	s_waitcnt vmcnt(27)
	v_mov_b32_e32 v15, v9
	s_waitcnt vmcnt(25)
	v_mov_b32_e32 v9, v42
	;; [unrolled: 2-line block ×8, first 2 shown]
.LBB0_8:
	s_or_b64 exec, exec, s[2:3]
	v_sub_f32_e32 v72, v53, v49
	v_add_f32_e32 v112, v53, v53
	v_mov_b32_e32 v113, v59
	v_sub_f32_e32 v14, v7, v43
	v_add_f32_e32 v56, v7, v7
	v_sub_f32_e32 v7, v38, v36
	v_sub_f32_e32 v36, v39, v37
	v_add_f32_e32 v42, v39, v39
	v_sub_f32_e32 v39, v21, v45
	v_sub_f32_e32 v45, v54, v68
	;; [unrolled: 1-line block ×3, first 2 shown]
	v_pk_add_f32 v[112:113], v[112:113], v[72:73] neg_lo:[0,1] neg_hi:[0,1]
	v_sub_f32_e32 v40, v11, v75
	v_add_f32_e32 v74, v59, v59
	v_fma_f32 v49, v54, 2.0, -v45
	v_fma_f32 v18, v18, 2.0, -v115
	v_mov_b32_e32 v75, v52
	v_sub_f32_e32 v59, v58, v64
	v_mov_b32_e32 v64, v113
	v_sub_f32_e32 v53, v19, v71
	v_sub_f32_e32 v18, v49, v18
	v_pk_add_f32 v[74:75], v[74:75], v[64:65] neg_lo:[0,1] neg_hi:[0,1]
	v_sub_f32_e32 v68, v55, v69
	v_add_f32_e32 v114, v55, v55
	v_fma_f32 v54, v19, 2.0, -v53
	v_fma_f32 v70, v49, 2.0, -v18
	v_sub_f32_e32 v49, v45, v53
	v_fma_f32 v58, v58, 2.0, -v59
	v_fma_f32 v52, v52, 2.0, -v75
	v_mov_b32_e32 v53, v72
	v_pk_add_f32 v[72:73], v[114:115], v[68:69] op_sel_hi:[1,0]
	v_pk_add_f32 v[118:119], v[58:59], v[52:53] neg_lo:[0,1] neg_hi:[0,1]
	v_sub_f32_e32 v66, v23, v57
	s_mov_b32 s3, 0x3f3504f3
	v_fma_f32 v45, v45, 2.0, -v49
	v_pk_add_f32 v[64:65], v[114:115], v[68:69] op_sel_hi:[1,0] neg_lo:[0,1] neg_hi:[0,1]
	v_mov_b32_e32 v55, 0x3f3504f3
	v_pk_fma_f32 v[58:59], v[58:59], 2.0, v[118:119] op_sel_hi:[1,0,1] neg_lo:[0,0,1] neg_hi:[0,0,1]
	v_fma_f32 v57, v68, 2.0, -v73
	v_pk_add_f32 v[114:115], v[64:65], v[54:55] neg_lo:[0,1] neg_hi:[0,1]
	v_pk_mul_f32 v[116:117], v[72:73], s[2:3]
	v_fmamk_f32 v53, v45, 0xbf3504f3, v59
	v_mov_b32_e32 v52, v58
	v_mul_f32_e32 v71, 0x3f3504f3, v57
	v_mov_b32_e32 v115, v117
	v_lshlrev_b32_e32 v1, 14, v1
	v_pk_add_f32 v[68:69], v[52:53], v[70:71] neg_lo:[0,1] neg_hi:[0,1]
	v_fmamk_f32 v71, v49, 0x3f3504f3, v119
	v_mov_b32_e32 v70, v118
	v_add_u32_e32 v52, 0, v1
	v_pk_add_f32 v[70:71], v[70:71], v[114:115] neg_lo:[0,1] neg_hi:[0,1]
	v_fma_f32 v116, v64, 2.0, -v114
	v_lshl_add_u32 v53, v79, 5, v52
	v_pk_fma_f32 v[58:59], v[58:59], 2.0, v[68:69] op_sel_hi:[1,0,1] neg_lo:[0,0,1] neg_hi:[0,0,1]
	v_pk_fma_f32 v[114:115], v[118:119], 2.0, v[70:71] op_sel_hi:[1,0,1] neg_lo:[0,0,1] neg_hi:[0,0,1]
	ds_write2_b64 v53, v[58:59], v[114:115] offset1:1
	v_add_f32_e32 v58, v23, v23
	v_mov_b32_e32 v59, v25
	v_pk_add_f32 v[58:59], v[58:59], v[66:67] neg_lo:[0,1] neg_hi:[0,1]
	v_mul_f32_e32 v117, 0x3f3504f3, v45
	v_add_f32_e32 v64, v25, v25
	v_sub_f32_e32 v23, v30, v46
	v_sub_f32_e32 v115, v28, v50
	;; [unrolled: 1-line block ×4, first 2 shown]
	v_mov_b32_e32 v65, v22
	v_mov_b32_e32 v34, v59
	v_mul_f32_e32 v19, 0x3f3504f3, v49
	v_sub_f32_e32 v46, v31, v47
	v_add_f32_e32 v114, v31, v31
	v_fma_f32 v31, v30, 2.0, -v23
	v_fma_f32 v28, v28, 2.0, -v115
	;; [unrolled: 1-line block ×3, first 2 shown]
	ds_write2_b64 v53, v[68:69], v[70:71] offset0:2 offset1:3
	v_sub_f32_e32 v45, v23, v45
	v_sub_f32_e32 v49, v32, v60
	v_pk_add_f32 v[70:71], v[64:65], v[34:35] neg_lo:[0,1] neg_hi:[0,1]
	v_sub_f32_e32 v28, v31, v28
	v_fma_f32 v47, v23, 2.0, -v45
	v_sub_f32_e32 v54, v33, v61
	v_add_f32_e32 v60, v33, v33
	v_fma_f32 v69, v32, 2.0, -v49
	v_fma_f32 v24, v24, 2.0, -v25
	;; [unrolled: 1-line block ×3, first 2 shown]
	v_mov_b32_e32 v33, v66
	v_fma_f32 v50, v31, 2.0, -v28
	v_pk_add_f32 v[22:23], v[114:115], v[46:47] op_sel_hi:[1,0] neg_lo:[0,1] neg_hi:[0,1]
	v_pk_add_f32 v[66:67], v[114:115], v[46:47] op_sel_hi:[1,0]
	v_mov_b32_e32 v31, v55
	v_pk_add_f32 v[32:33], v[24:25], v[32:33] neg_lo:[0,1] neg_hi:[0,1]
	v_pk_add_f32 v[30:31], v[22:23], v[30:31] neg_lo:[0,1] neg_hi:[0,1]
	v_pk_mul_f32 v[34:35], v[66:67], s[2:3]
	v_pk_fma_f32 v[24:25], v[24:25], 2.0, v[32:33] op_sel_hi:[1,0,1] neg_lo:[0,0,1] neg_hi:[0,0,1]
	v_fma_f32 v64, v46, 2.0, -v67
	v_mov_b32_e32 v31, v35
	v_fmamk_f32 v35, v47, 0xbf3504f3, v25
	v_mov_b32_e32 v34, v24
	v_mul_f32_e32 v51, 0x3f3504f3, v64
	s_waitcnt vmcnt(0)
	v_sub_f32_e32 v111, v27, v63
	v_mul_f32_e32 v63, 0x3f3504f3, v47
	v_pk_add_f32 v[46:47], v[34:35], v[50:51] neg_lo:[0,1] neg_hi:[0,1]
	v_fmamk_f32 v35, v45, 0x3f3504f3, v33
	v_mov_b32_e32 v34, v32
	v_sub_f32_e32 v61, v26, v62
	v_fma_f32 v62, v22, 2.0, -v30
	v_pk_add_f32 v[30:31], v[34:35], v[30:31] neg_lo:[0,1] neg_hi:[0,1]
	v_lshl_add_u32 v126, v82, 5, v52
	v_pk_fma_f32 v[24:25], v[24:25], 2.0, v[46:47] op_sel_hi:[1,0,1] neg_lo:[0,0,1] neg_hi:[0,0,1]
	v_pk_fma_f32 v[32:33], v[32:33], 2.0, v[30:31] op_sel_hi:[1,0,1] neg_lo:[0,0,1] neg_hi:[0,0,1]
	ds_write2_b64 v126, v[24:25], v[32:33] offset1:1
	v_pk_add_f32 v[34:35], v[74:75], v[112:113] neg_lo:[0,1] neg_hi:[0,1]
	v_pk_add_f32 v[24:25], v[74:75], v[112:113]
	v_mov_b32_e32 v75, v113
	v_mov_b32_e32 v35, v25
	v_pk_fma_f32 v[50:51], v[72:73], s[2:3], v[24:25]
	v_pk_add_f32 v[32:33], v[70:71], v[58:59] neg_lo:[0,1] neg_hi:[0,1]
	v_pk_add_f32 v[24:25], v[70:71], v[58:59]
	s_movk_i32 s2, 0xffe4
	ds_write2_b64 v126, v[46:47], v[30:31] offset0:2 offset1:3
	v_mov_b32_e32 v33, v25
	v_pk_fma_f32 v[46:47], v[66:67], s[2:3], v[24:25]
	v_pk_fma_f32 v[24:25], v[74:75], 2.0, v[34:35] op_sel_hi:[1,0,1] neg_lo:[0,0,1] neg_hi:[0,0,1]
	v_add_f32_e32 v114, v11, v11
	v_fma_f32 v11, v26, 2.0, -v61
	v_mov_b32_e32 v115, v13
	v_fmamk_f32 v31, v57, 0xbf3504f3, v25
	v_mov_b32_e32 v30, v24
	v_sub_f32_e32 v22, v69, v11
	v_pk_add_f32 v[66:67], v[30:31], v[116:117]
	v_pk_add_f32 v[30:31], v[114:115], v[40:41] neg_lo:[0,1] neg_hi:[0,1]
	v_add_f32_e32 v68, v13, v13
	v_fma_f32 v118, v69, 2.0, -v22
	v_mov_b32_e32 v69, v10
	v_pk_add_f32 v[72:73], v[24:25], v[116:117] neg_lo:[0,1] neg_hi:[0,1]
	v_sub_f32_e32 v13, v12, v16
	v_mov_b32_e32 v16, v31
	v_fma_f32 v26, v27, 2.0, -v111
	v_lshlrev_b32_e32 v27, 2, v88
	v_mov_b32_e32 v71, v59
	v_mov_b32_e32 v73, v67
	v_pk_add_f32 v[16:17], v[68:69], v[16:17] neg_lo:[0,1] neg_hi:[0,1]
	v_sub_f32_e32 v119, v49, v111
	v_add_u32_e32 v58, v52, v27
	v_add3_u32 v111, 0, v27, v1
	v_pk_fma_f32 v[74:75], v[24:25], 2.0, v[72:73] op_sel_hi:[1,0,1] neg_lo:[0,0,1] neg_hi:[0,0,1]
	v_pk_fma_f32 v[24:25], v[70:71], 2.0, v[32:33] op_sel_hi:[1,0,1] neg_lo:[0,0,1] neg_hi:[0,0,1]
	v_fma_f32 v68, v10, 2.0, -v17
	v_mov_b32_e32 v69, v40
	v_pk_add_f32 v[70:71], v[16:17], v[30:31] neg_lo:[0,1] neg_hi:[0,1]
	v_pk_add_f32 v[40:41], v[16:17], v[30:31]
	v_mov_b32_e32 v17, v31
	v_pk_add_f32 v[30:31], v[60:61], v[54:55] op_sel_hi:[1,0] neg_lo:[0,1] neg_hi:[0,1]
	v_pk_add_f32 v[60:61], v[60:61], v[54:55] op_sel_hi:[1,0]
	v_mov_b32_e32 v27, v55
	v_pk_add_f32 v[26:27], v[30:31], v[26:27] neg_lo:[0,1] neg_hi:[0,1]
	v_pk_mul_f32 v[114:115], v[60:61], s[2:3]
	v_fma_f32 v12, v12, 2.0, -v13
	v_mov_b32_e32 v27, v115
	v_fmamk_f32 v115, v64, 0xbf3504f3, v25
	v_mov_b32_e32 v114, v24
	v_pk_add_f32 v[114:115], v[114:115], v[62:63]
	v_pk_add_f32 v[62:63], v[24:25], v[62:63] neg_lo:[0,1] neg_hi:[0,1]
	v_fma_f32 v49, v49, 2.0, -v119
	v_mov_b32_e32 v63, v115
	v_pk_fma_f32 v[116:117], v[24:25], 2.0, v[62:63] op_sel_hi:[1,0,1] neg_lo:[0,0,1] neg_hi:[0,0,1]
	v_pk_add_f32 v[24:25], v[12:13], v[68:69] neg_lo:[0,1] neg_hi:[0,1]
	v_mov_b32_e32 v71, v41
	v_pk_fma_f32 v[12:13], v[12:13], 2.0, v[24:25] op_sel_hi:[1,0,1] neg_lo:[0,0,1] neg_hi:[0,0,1]
	v_fma_f32 v1, v54, 2.0, -v61
	v_mul_f32_e32 v23, 0x3f3504f3, v119
	v_fmamk_f32 v31, v49, 0xbf3504f3, v13
	v_fma_f32 v10, v30, 2.0, -v26
	v_fmamk_f32 v69, v119, 0x3f3504f3, v25
	v_mov_b32_e32 v30, v12
	v_pk_fma_f32 v[16:17], v[16:17], 2.0, v[70:71] op_sel_hi:[1,0,1] neg_lo:[0,0,1] neg_hi:[0,0,1]
	v_mul_f32_e32 v119, 0x3f3504f3, v1
	v_mov_b32_e32 v68, v24
	v_mul_f32_e32 v11, 0x3f3504f3, v49
	v_pk_add_f32 v[30:31], v[30:31], v[118:119] neg_lo:[0,1] neg_hi:[0,1]
	v_pk_add_f32 v[26:27], v[68:69], v[26:27] neg_lo:[0,1] neg_hi:[0,1]
	v_fmamk_f32 v69, v1, 0xbf3504f3, v17
	v_mov_b32_e32 v68, v16
	v_lshl_add_u32 v127, v83, 5, v52
	v_pk_fma_f32 v[12:13], v[12:13], 2.0, v[30:31] op_sel_hi:[1,0,1] neg_lo:[0,0,1] neg_hi:[0,0,1]
	v_pk_add_f32 v[118:119], v[16:17], v[10:11] neg_lo:[0,1] neg_hi:[0,1]
	v_pk_add_f32 v[68:69], v[68:69], v[10:11]
	v_pk_fma_f32 v[10:11], v[24:25], 2.0, v[26:27] op_sel_hi:[1,0,1] neg_lo:[0,0,1] neg_hi:[0,0,1]
	v_mov_b32_e32 v57, v5
	s_load_dwordx8 s[4:11], s[12:13], 0x0
	v_sub_f32_e32 v43, v20, v44
	ds_write2_b64 v127, v[12:13], v[10:11] offset1:1
	ds_write2_b64 v127, v[30:31], v[26:27] offset0:2 offset1:3
	v_pk_add_f32 v[10:11], v[56:57], v[14:15] neg_lo:[0,1] neg_hi:[0,1]
	v_add_f32_e32 v48, v5, v5
	v_fma_f32 v37, v38, 2.0, -v7
	v_fma_f32 v20, v20, 2.0, -v43
	v_mov_b32_e32 v49, v6
	v_sub_f32_e32 v5, v4, v8
	v_mov_b32_e32 v8, v11
	v_sub_f32_e32 v20, v37, v20
	v_pk_add_f32 v[8:9], v[48:49], v[8:9] neg_lo:[0,1] neg_hi:[0,1]
	v_fma_f32 v38, v37, 2.0, -v20
	v_sub_f32_e32 v37, v7, v39
	v_fma_f32 v4, v4, 2.0, -v5
	v_fma_f32 v12, v6, 2.0, -v9
	v_mov_b32_e32 v13, v14
	v_fma_f32 v44, v21, 2.0, -v39
	v_mul_f32_e32 v29, 0x3f3504f3, v45
	v_pk_add_f32 v[12:13], v[4:5], v[12:13] neg_lo:[0,1] neg_hi:[0,1]
	v_pk_add_f32 v[48:49], v[8:9], v[10:11] neg_lo:[0,1] neg_hi:[0,1]
	v_pk_add_f32 v[24:25], v[8:9], v[10:11]
	v_mov_b32_e32 v9, v11
	v_pk_add_f32 v[10:11], v[42:43], v[36:37] op_sel_hi:[1,0] neg_lo:[0,1] neg_hi:[0,1]
	v_pk_add_f32 v[26:27], v[42:43], v[36:37] op_sel_hi:[1,0]
	v_mov_b32_e32 v45, v55
	v_fma_f32 v39, v7, 2.0, -v37
	v_mov_b32_e32 v119, v69
	v_pk_fma_f32 v[60:61], v[60:61], s[2:3], v[40:41]
	v_pk_fma_f32 v[4:5], v[4:5], 2.0, v[12:13] op_sel_hi:[1,0,1] neg_lo:[0,0,1] neg_hi:[0,0,1]
	v_mov_b32_e32 v49, v25
	v_pk_add_f32 v[30:31], v[10:11], v[44:45] neg_lo:[0,1] neg_hi:[0,1]
	v_pk_mul_f32 v[40:41], v[26:27], s[2:3]
	v_fma_f32 v1, v36, 2.0, -v27
	v_mul_f32_e32 v7, 0x3f3504f3, v39
	v_pk_fma_f32 v[120:121], v[16:17], 2.0, v[118:119] op_sel_hi:[1,0,1] neg_lo:[0,0,1] neg_hi:[0,0,1]
	v_fmamk_f32 v15, v39, 0xbf3504f3, v5
	v_fmamk_f32 v17, v37, 0x3f3504f3, v13
	v_mov_b32_e32 v14, v4
	v_pk_fma_f32 v[8:9], v[8:9], 2.0, v[48:49] op_sel_hi:[1,0,1] neg_lo:[0,0,1] neg_hi:[0,0,1]
	v_mov_b32_e32 v31, v41
	v_mul_f32_e32 v39, 0x3f3504f3, v1
	v_mov_b32_e32 v16, v12
	v_fma_f32 v6, v10, 2.0, -v30
	v_pk_add_f32 v[10:11], v[14:15], v[38:39] neg_lo:[0,1] neg_hi:[0,1]
	v_pk_add_f32 v[14:15], v[16:17], v[30:31] neg_lo:[0,1] neg_hi:[0,1]
	v_fmamk_f32 v17, v1, 0xbf3504f3, v9
	v_mov_b32_e32 v16, v8
	v_pk_fma_f32 v[54:55], v[26:27], s[2:3], v[24:25]
	v_mul_f32_e32 v21, 0x3f3504f3, v37
	v_pk_add_f32 v[42:43], v[8:9], v[6:7] neg_lo:[0,1] neg_hi:[0,1]
	v_pk_add_f32 v[40:41], v[16:17], v[6:7]
	v_mov_b32_e32 v54, v48
	v_mov_b32_e32 v43, v41
	v_pk_add_f32 v[20:21], v[54:55], v[20:21]
	v_mov_b32_e32 v50, v34
	v_lshl_add_u32 v113, v88, 5, v52
	v_pk_fma_f32 v[4:5], v[4:5], 2.0, v[10:11] op_sel_hi:[1,0,1] neg_lo:[0,0,1] neg_hi:[0,0,1]
	v_pk_fma_f32 v[44:45], v[8:9], 2.0, v[42:43] op_sel_hi:[1,0,1] neg_lo:[0,0,1] neg_hi:[0,0,1]
	;; [unrolled: 1-line block ×4, first 2 shown]
	v_pk_add_f32 v[18:19], v[50:51], v[18:19]
	v_mad_i32_i24 v59, v82, s2, v126
	v_lshl_add_u32 v65, v79, 2, v52
	v_mad_i32_i24 v112, v83, s2, v127
	ds_write2_b64 v113, v[4:5], v[6:7] offset1:1
	ds_write2_b64 v113, v[10:11], v[14:15] offset0:2 offset1:3
	s_waitcnt lgkmcnt(0)
	s_barrier
	ds_read2st64_b32 v[14:15], v111 offset0:8 offset1:10
	ds_read2st64_b32 v[122:123], v111 offset0:12 offset1:14
	;; [unrolled: 1-line block ×14, first 2 shown]
	ds_read_b32 v64, v58
	ds_read_b32 v128, v59
	;; [unrolled: 1-line block ×4, first 2 shown]
	s_waitcnt lgkmcnt(0)
	s_barrier
	ds_write2_b64 v113, v[44:45], v[48:49] offset1:1
	ds_write2_b64 v113, v[42:43], v[20:21] offset0:2 offset1:3
	v_pk_fma_f32 v[20:21], v[34:35], 2.0, v[18:19] op_sel_hi:[1,0,1] neg_lo:[0,0,1] neg_hi:[0,0,1]
	v_mov_b32_e32 v46, v32
	ds_write2_b64 v53, v[74:75], v[20:21] offset1:1
	ds_write2_b64 v53, v[72:73], v[18:19] offset0:2 offset1:3
	v_pk_add_f32 v[18:19], v[46:47], v[28:29]
	v_mov_b32_e32 v60, v70
	v_pk_fma_f32 v[20:21], v[32:33], 2.0, v[18:19] op_sel_hi:[1,0,1] neg_lo:[0,0,1] neg_hi:[0,0,1]
	ds_write2_b64 v126, v[116:117], v[20:21] offset1:1
	ds_write2_b64 v126, v[62:63], v[18:19] offset0:2 offset1:3
	v_pk_add_f32 v[18:19], v[60:61], v[22:23]
	v_and_b32_e32 v1, 7, v0
	v_pk_fma_f32 v[20:21], v[70:71], 2.0, v[18:19] op_sel_hi:[1,0,1] neg_lo:[0,0,1] neg_hi:[0,0,1]
	ds_write2_b64 v127, v[120:121], v[20:21] offset1:1
	ds_write2_b64 v127, v[118:119], v[18:19] offset0:2 offset1:3
	v_mul_u32_u24_e32 v18, 15, v1
	v_lshlrev_b32_e32 v41, 3, v18
	s_waitcnt lgkmcnt(0)
	s_barrier
	global_load_dwordx4 v[18:21], v41, s[16:17] offset:16
	global_load_dwordx4 v[32:35], v41, s[16:17] offset:32
	;; [unrolled: 1-line block ×3, first 2 shown]
	global_load_dwordx4 v[46:49], v41, s[16:17]
	global_load_dwordx4 v[54:57], v41, s[16:17] offset:64
	global_load_dwordx4 v[60:63], v41, s[16:17] offset:80
	ds_read2st64_b32 v[22:23], v111 offset0:8 offset1:10
	ds_read2st64_b32 v[28:29], v111 offset0:12 offset1:14
	;; [unrolled: 1-line block ×9, first 2 shown]
	global_load_dwordx2 v[120:121], v41, s[16:17] offset:112
	global_load_dwordx4 v[66:69], v41, s[16:17] offset:96
	v_lshlrev_b32_e32 v0, 4, v0
	s_movk_i32 s2, 0x780
	v_and_or_b32 v0, v0, s2, v1
	s_movk_i32 s2, 0xf80
	v_lshl_add_u32 v3, v3, 2, v52
	v_lshl_add_u32 v91, v91, 2, v52
	;; [unrolled: 1-line block ×5, first 2 shown]
	s_waitcnt vmcnt(7)
	v_mul_f32_e32 v113, v122, v19
	s_waitcnt lgkmcnt(7)
	v_mul_f32_e32 v53, v28, v19
	v_fmac_f32_e32 v113, v28, v18
	s_waitcnt lgkmcnt(6)
	v_mul_f32_e32 v28, v50, v21
	v_fma_f32 v53, v122, v18, -v53
	v_fma_f32 v122, v124, v20, -v28
	v_mul_f32_e32 v28, v29, v19
	v_fma_f32 v126, v123, v18, -v28
	v_mul_f32_e32 v123, v123, v19
	v_mul_f32_e32 v124, v124, v21
	v_fmac_f32_e32 v123, v29, v18
	v_mul_f32_e32 v18, v51, v21
	s_waitcnt vmcnt(6) lgkmcnt(5)
	v_mul_f32_e32 v28, v70, v33
	v_fma_f32 v41, v125, v20, -v18
	v_mul_f32_e32 v125, v125, v21
	v_fmac_f32_e32 v124, v50, v20
	v_fma_f32 v50, v38, v32, -v28
	s_waitcnt lgkmcnt(4)
	v_mul_f32_e32 v28, v72, v35
	v_fmac_f32_e32 v125, v51, v20
	v_mul_f32_e32 v38, v38, v33
	v_fma_f32 v51, v36, v34, -v28
	v_mul_f32_e32 v28, v71, v33
	v_fmac_f32_e32 v38, v70, v32
	v_fma_f32 v70, v39, v32, -v28
	v_mul_f32_e32 v39, v39, v33
	v_mul_f32_e32 v36, v36, v35
	;; [unrolled: 1-line block ×4, first 2 shown]
	v_fmac_f32_e32 v39, v71, v32
	v_fma_f32 v71, v37, v34, -v28
	v_fmac_f32_e32 v36, v72, v34
	v_fmac_f32_e32 v35, v73, v34
	s_waitcnt vmcnt(5) lgkmcnt(3)
	v_mul_f32_e32 v34, v74, v43
	v_mul_f32_e32 v72, v75, v43
	v_fma_f32 v34, v30, v42, -v34
	v_mul_f32_e32 v30, v30, v43
	v_fma_f32 v72, v31, v42, -v72
	v_mul_f32_e32 v31, v31, v43
	v_fmac_f32_e32 v30, v74, v42
	s_waitcnt lgkmcnt(2)
	v_mul_f32_e32 v37, v114, v45
	v_fmac_f32_e32 v31, v75, v42
	v_mul_f32_e32 v42, v115, v45
	ds_read2st64_b32 v[18:19], v111 offset0:44 offset1:46
	ds_read2st64_b32 v[20:21], v111 offset0:48 offset1:50
	;; [unrolled: 1-line block ×4, first 2 shown]
	v_fma_f32 v37, v26, v44, -v37
	v_mul_f32_e32 v26, v26, v45
	v_fma_f32 v42, v27, v44, -v42
	v_mul_f32_e32 v27, v27, v45
	ds_read_b32 v43, v58
	ds_read_b32 v45, v59
	s_waitcnt vmcnt(4)
	v_mul_f32_e32 v75, v128, v47
	v_fmac_f32_e32 v26, v114, v44
	v_fmac_f32_e32 v27, v115, v44
	s_waitcnt vmcnt(3) lgkmcnt(6)
	v_mul_f32_e32 v114, v118, v57
	s_waitcnt lgkmcnt(0)
	v_mul_f32_e32 v74, v45, v47
	v_fmac_f32_e32 v75, v45, v46
	v_mul_f32_e32 v45, v116, v55
	v_mul_f32_e32 v115, v117, v55
	v_fma_f32 v45, v24, v54, -v45
	v_mul_f32_e32 v24, v24, v55
	v_fma_f32 v114, v16, v56, -v114
	v_fma_f32 v115, v25, v54, -v115
	v_mul_f32_e32 v25, v25, v55
	v_mul_f32_e32 v55, v16, v57
	;; [unrolled: 1-line block ×4, first 2 shown]
	v_fmac_f32_e32 v24, v116, v54
	v_fmac_f32_e32 v25, v117, v54
	v_fma_f32 v54, v17, v56, -v16
	v_fmac_f32_e32 v55, v118, v56
	v_fmac_f32_e32 v57, v119, v56
	v_mul_f32_e32 v56, v22, v49
	v_fma_f32 v56, v14, v48, -v56
	v_mul_f32_e32 v14, v14, v49
	ds_read_b32 v44, v65
	ds_read_b32 v73, v112
	v_fmac_f32_e32 v14, v22, v48
	s_waitcnt vmcnt(2)
	v_mul_f32_e32 v22, v18, v61
	v_fma_f32 v22, v12, v60, -v22
	v_mul_f32_e32 v12, v12, v61
	v_fmac_f32_e32 v12, v18, v60
	v_mul_f32_e32 v18, v20, v63
	ds_read2st64_b32 v[16:17], v111 offset0:60 offset1:62
	v_fma_f32 v18, v10, v62, -v18
	v_mul_f32_e32 v116, v23, v49
	v_mul_f32_e32 v10, v10, v63
	v_fma_f32 v116, v15, v48, -v116
	v_mul_f32_e32 v15, v15, v49
	v_fmac_f32_e32 v10, v20, v62
	s_waitcnt vmcnt(0)
	v_mul_f32_e32 v20, v28, v67
	v_fmac_f32_e32 v15, v23, v48
	v_fma_f32 v20, v8, v66, -v20
	s_waitcnt lgkmcnt(1)
	v_mul_f32_e32 v23, v73, v47
	v_mul_f32_e32 v47, v129, v47
	;; [unrolled: 1-line block ×3, first 2 shown]
	v_fma_f32 v74, v128, v46, -v74
	v_fma_f32 v23, v129, v46, -v23
	v_fmac_f32_e32 v47, v73, v46
	v_fmac_f32_e32 v8, v28, v66
	v_mul_f32_e32 v28, v32, v69
	v_mul_f32_e32 v46, v19, v61
	v_fma_f32 v28, v6, v68, -v28
	v_mul_f32_e32 v6, v6, v69
	v_fma_f32 v46, v13, v60, -v46
	v_mul_f32_e32 v13, v13, v61
	v_fmac_f32_e32 v6, v32, v68
	s_waitcnt lgkmcnt(0)
	v_mul_f32_e32 v32, v16, v121
	v_fmac_f32_e32 v13, v19, v60
	v_mul_f32_e32 v19, v29, v67
	v_fma_f32 v32, v4, v120, -v32
	v_mul_f32_e32 v4, v4, v121
	v_fma_f32 v19, v9, v66, -v19
	v_mul_f32_e32 v9, v9, v67
	v_fmac_f32_e32 v4, v16, v120
	v_mul_f32_e32 v16, v21, v63
	v_fmac_f32_e32 v9, v29, v66
	v_mul_f32_e32 v29, v17, v121
	v_fma_f32 v16, v11, v62, -v16
	v_mul_f32_e32 v11, v11, v63
	v_fma_f32 v29, v5, v120, -v29
	v_mul_f32_e32 v5, v5, v121
	v_fmac_f32_e32 v11, v21, v62
	v_mul_f32_e32 v21, v33, v69
	v_fmac_f32_e32 v5, v17, v120
	v_sub_f32_e32 v17, v64, v37
	v_sub_f32_e32 v26, v43, v26
	;; [unrolled: 1-line block ×8, first 2 shown]
	v_fma_f32 v21, v7, v68, -v21
	v_mul_f32_e32 v7, v7, v69
	v_fma_f32 v37, v43, 2.0, -v26
	v_fma_f32 v43, v122, 2.0, -v18
	;; [unrolled: 1-line block ×5, first 2 shown]
	v_sub_f32_e32 v10, v17, v10
	v_add_f32_e32 v18, v26, v18
	v_sub_f32_e32 v6, v49, v6
	v_add_f32_e32 v28, v55, v28
	v_fmac_f32_e32 v7, v33, v68
	v_fma_f32 v33, v64, 2.0, -v17
	v_fma_f32 v56, v56, 2.0, -v49
	;; [unrolled: 1-line block ×3, first 2 shown]
	v_sub_f32_e32 v45, v74, v45
	v_sub_f32_e32 v24, v75, v24
	;; [unrolled: 1-line block ×8, first 2 shown]
	v_fma_f32 v17, v17, 2.0, -v10
	v_fma_f32 v26, v26, 2.0, -v18
	;; [unrolled: 1-line block ×12, first 2 shown]
	v_sub_f32_e32 v48, v37, v48
	v_sub_f32_e32 v51, v56, v51
	v_fmamk_f32 v63, v49, 0xbf3504f3, v17
	v_fmamk_f32 v64, v55, 0xbf3504f3, v26
	v_fma_f32 v56, v56, 2.0, -v51
	v_sub_f32_e32 v50, v60, v50
	v_sub_f32_e32 v38, v61, v38
	v_add_f32_e32 v20, v24, v20
	v_sub_f32_e32 v34, v53, v34
	v_sub_f32_e32 v30, v62, v30
	v_add_f32_e32 v32, v12, v32
	v_fmac_f32_e32 v63, 0xbf3504f3, v55
	v_fmac_f32_e32 v64, 0x3f3504f3, v49
	v_add_f32_e32 v49, v48, v51
	v_fmamk_f32 v51, v6, 0x3f3504f3, v10
	v_fmamk_f32 v55, v28, 0x3f3504f3, v18
	v_fma_f32 v60, v60, 2.0, -v50
	v_fma_f32 v61, v61, 2.0, -v38
	v_sub_f32_e32 v8, v45, v8
	v_fma_f32 v24, v24, 2.0, -v20
	v_fma_f32 v53, v53, 2.0, -v34
	;; [unrolled: 1-line block ×3, first 2 shown]
	v_sub_f32_e32 v4, v22, v4
	v_fma_f32 v12, v12, 2.0, -v32
	v_fmac_f32_e32 v51, 0xbf3504f3, v28
	v_fmac_f32_e32 v55, 0x3f3504f3, v6
	v_fma_f32 v45, v45, 2.0, -v8
	v_fma_f32 v22, v22, 2.0, -v4
	;; [unrolled: 1-line block ×4, first 2 shown]
	v_sub_f32_e32 v18, v60, v53
	v_sub_f32_e32 v28, v61, v62
	v_fmamk_f32 v62, v12, 0xbf3504f3, v24
	v_sub_f32_e32 v43, v33, v43
	v_fma_f32 v53, v60, 2.0, -v18
	v_fma_f32 v60, v61, 2.0, -v28
	v_fmamk_f32 v61, v22, 0xbf3504f3, v45
	v_fmac_f32_e32 v62, 0x3f3504f3, v22
	v_fma_f32 v33, v33, 2.0, -v43
	v_fmac_f32_e32 v61, 0xbf3504f3, v12
	v_fma_f32 v22, v24, 2.0, -v62
	v_sub_f32_e32 v24, v50, v30
	v_sub_f32_e32 v36, v14, v36
	;; [unrolled: 1-line block ×3, first 2 shown]
	v_fma_f32 v12, v45, 2.0, -v61
	v_add_f32_e32 v30, v38, v34
	v_fma_f32 v34, v50, 2.0, -v24
	v_fmamk_f32 v45, v4, 0x3f3504f3, v8
	v_fmamk_f32 v50, v32, 0x3f3504f3, v20
	v_fma_f32 v37, v37, 2.0, -v48
	v_fma_f32 v14, v14, 2.0, -v36
	;; [unrolled: 1-line block ×3, first 2 shown]
	v_fmac_f32_e32 v45, 0xbf3504f3, v32
	v_fmac_f32_e32 v50, 0x3f3504f3, v4
	v_sub_f32_e32 v14, v37, v14
	v_fma_f32 v17, v17, 2.0, -v63
	v_fma_f32 v4, v8, 2.0, -v45
	;; [unrolled: 1-line block ×3, first 2 shown]
	v_sub_f32_e32 v20, v33, v53
	v_fma_f32 v37, v37, 2.0, -v14
	v_fma_f32 v26, v26, 2.0, -v64
	v_sub_f32_e32 v36, v43, v36
	v_fma_f32 v32, v33, 2.0, -v20
	v_fmamk_f32 v33, v12, 0xbf6c835e, v17
	v_fma_f32 v43, v43, 2.0, -v36
	v_sub_f32_e32 v53, v37, v60
	v_fmamk_f32 v60, v22, 0xbf6c835e, v26
	v_fmac_f32_e32 v33, 0xbec3ef15, v22
	v_fma_f32 v48, v48, 2.0, -v49
	v_fma_f32 v38, v38, 2.0, -v30
	v_fmac_f32_e32 v60, 0x3ec3ef15, v12
	v_fma_f32 v12, v17, 2.0, -v33
	v_fmamk_f32 v17, v34, 0xbf3504f3, v43
	v_fmamk_f32 v67, v38, 0xbf3504f3, v48
	v_fmac_f32_e32 v17, 0xbf3504f3, v38
	v_fma_f32 v66, v26, 2.0, -v60
	v_fmac_f32_e32 v67, 0x3f3504f3, v34
	v_fma_f32 v22, v43, 2.0, -v17
	v_fmamk_f32 v26, v4, 0xbec3ef15, v6
	v_fmamk_f32 v38, v8, 0xbec3ef15, v10
	v_add_f32_e32 v43, v14, v18
	v_fma_f32 v34, v48, 2.0, -v67
	v_fmac_f32_e32 v26, 0xbf6c835e, v8
	v_fmac_f32_e32 v38, 0x3f6c835e, v4
	v_sub_f32_e32 v8, v56, v28
	v_fma_f32 v48, v14, 2.0, -v43
	v_fmamk_f32 v14, v61, 0x3ec3ef15, v63
	v_fma_f32 v4, v6, 2.0, -v26
	v_fma_f32 v6, v10, 2.0, -v38
	;; [unrolled: 1-line block ×3, first 2 shown]
	v_fmamk_f32 v56, v62, 0x3ec3ef15, v64
	v_fmac_f32_e32 v14, 0xbf6c835e, v62
	v_fmamk_f32 v28, v24, 0x3f3504f3, v36
	v_fmamk_f32 v62, v30, 0x3f3504f3, v49
	v_fmac_f32_e32 v28, 0xbf3504f3, v30
	v_fmac_f32_e32 v62, 0x3f3504f3, v24
	v_fma_f32 v24, v36, 2.0, -v28
	v_fma_f32 v36, v49, 2.0, -v62
	v_fmamk_f32 v49, v50, 0x3f6c835e, v55
	v_fmamk_f32 v30, v45, 0x3f6c835e, v51
	v_fmac_f32_e32 v49, 0x3ec3ef15, v45
	v_fmac_f32_e32 v30, 0xbec3ef15, v50
	v_fma_f32 v50, v55, 2.0, -v49
	v_sub_f32_e32 v42, v40, v42
	v_sub_f32_e32 v27, v44, v27
	v_sub_f32_e32 v16, v41, v16
	v_sub_f32_e32 v11, v125, v11
	v_sub_f32_e32 v54, v116, v54
	v_sub_f32_e32 v55, v15, v57
	v_sub_f32_e32 v21, v71, v21
	v_sub_f32_e32 v7, v35, v7
	v_fmac_f32_e32 v56, 0x3f6c835e, v61
	v_fma_f32 v18, v63, 2.0, -v14
	v_fma_f32 v45, v51, 2.0, -v30
	;; [unrolled: 1-line block ×6, first 2 shown]
	v_sub_f32_e32 v11, v42, v11
	v_add_f32_e32 v16, v27, v16
	v_sub_f32_e32 v7, v54, v7
	v_add_f32_e32 v21, v55, v21
	v_fma_f32 v61, v64, 2.0, -v56
	v_fma_f32 v40, v40, 2.0, -v42
	;; [unrolled: 1-line block ×5, first 2 shown]
	v_sub_f32_e32 v64, v23, v115
	v_sub_f32_e32 v19, v70, v19
	;; [unrolled: 1-line block ×4, first 2 shown]
	v_fma_f32 v42, v42, 2.0, -v11
	v_fma_f32 v27, v27, 2.0, -v16
	v_fma_f32 v54, v54, 2.0, -v7
	v_fma_f32 v55, v55, 2.0, -v21
	v_sub_f32_e32 v25, v47, v25
	v_fma_f32 v23, v23, 2.0, -v64
	v_sub_f32_e32 v9, v39, v9
	v_fma_f32 v68, v70, 2.0, -v19
	;; [unrolled: 2-line block ×4, first 2 shown]
	v_sub_f32_e32 v51, v44, v51
	v_sub_f32_e32 v63, v57, v63
	v_fmamk_f32 v72, v54, 0xbf3504f3, v42
	v_fmamk_f32 v73, v55, 0xbf3504f3, v27
	v_fma_f32 v47, v47, 2.0, -v25
	v_fma_f32 v39, v39, 2.0, -v9
	v_fma_f32 v70, v123, 2.0, -v13
	v_fma_f32 v31, v31, 2.0, -v5
	v_fma_f32 v57, v57, 2.0, -v63
	v_sub_f32_e32 v68, v23, v68
	v_sub_f32_e32 v9, v64, v9
	;; [unrolled: 1-line block ×4, first 2 shown]
	v_fmac_f32_e32 v72, 0xbf3504f3, v55
	v_fmac_f32_e32 v73, 0x3f3504f3, v54
	v_add_f32_e32 v54, v51, v63
	v_fmamk_f32 v55, v7, 0x3f3504f3, v11
	v_fmamk_f32 v63, v21, 0x3f3504f3, v16
	v_sub_f32_e32 v39, v47, v39
	v_fma_f32 v23, v23, 2.0, -v68
	v_add_f32_e32 v19, v25, v19
	v_fma_f32 v64, v64, 2.0, -v9
	v_sub_f32_e32 v31, v70, v31
	v_fma_f32 v69, v69, 2.0, -v71
	v_add_f32_e32 v29, v13, v29
	v_fma_f32 v46, v46, 2.0, -v5
	v_fmac_f32_e32 v55, 0xbf3504f3, v21
	v_fmac_f32_e32 v63, 0x3f3504f3, v7
	v_sub_f32_e32 v41, v40, v41
	v_sub_f32_e32 v35, v15, v35
	v_fma_f32 v47, v47, 2.0, -v39
	v_fma_f32 v25, v25, 2.0, -v19
	;; [unrolled: 1-line block ×6, first 2 shown]
	v_sub_f32_e32 v16, v23, v69
	v_fmamk_f32 v69, v46, 0xbf3504f3, v64
	v_fma_f32 v40, v40, 2.0, -v41
	v_fma_f32 v44, v44, 2.0, -v51
	;; [unrolled: 1-line block ×3, first 2 shown]
	v_sub_f32_e32 v21, v47, v70
	v_fmamk_f32 v70, v13, 0xbf3504f3, v25
	v_fmac_f32_e32 v69, 0xbf3504f3, v13
	v_sub_f32_e32 v31, v68, v31
	v_sub_f32_e32 v57, v40, v57
	;; [unrolled: 1-line block ×3, first 2 shown]
	v_fmac_f32_e32 v70, 0x3f3504f3, v46
	v_fma_f32 v13, v64, 2.0, -v69
	v_add_f32_e32 v46, v39, v71
	v_fma_f32 v64, v68, 2.0, -v31
	v_fmamk_f32 v68, v5, 0x3f3504f3, v9
	v_fmamk_f32 v71, v29, 0x3f3504f3, v19
	v_fma_f32 v40, v40, 2.0, -v57
	v_fma_f32 v44, v44, 2.0, -v15
	;; [unrolled: 1-line block ×3, first 2 shown]
	v_sub_f32_e32 v35, v41, v35
	v_fma_f32 v23, v23, 2.0, -v16
	v_fma_f32 v47, v47, 2.0, -v21
	v_fmac_f32_e32 v68, 0xbf3504f3, v29
	v_fmac_f32_e32 v71, 0x3f3504f3, v5
	v_fma_f32 v27, v27, 2.0, -v73
	v_fma_f32 v41, v41, 2.0, -v35
	;; [unrolled: 1-line block ×7, first 2 shown]
	v_sub_f32_e32 v19, v40, v23
	v_sub_f32_e32 v47, v44, v47
	v_fmamk_f32 v29, v13, 0xbf6c835e, v42
	v_fma_f32 v23, v40, 2.0, -v19
	v_fma_f32 v40, v44, 2.0, -v47
	v_fmamk_f32 v44, v25, 0xbf6c835e, v27
	v_fmac_f32_e32 v29, 0xbec3ef15, v25
	v_fmamk_f32 v25, v64, 0xbf3504f3, v41
	v_fmamk_f32 v74, v39, 0xbf3504f3, v51
	v_fmac_f32_e32 v44, 0x3ec3ef15, v13
	v_fmac_f32_e32 v25, 0xbf3504f3, v39
	;; [unrolled: 1-line block ×3, first 2 shown]
	v_fma_f32 v13, v42, 2.0, -v29
	v_fma_f32 v42, v27, 2.0, -v44
	;; [unrolled: 1-line block ×4, first 2 shown]
	v_fmamk_f32 v41, v5, 0xbec3ef15, v7
	v_fmamk_f32 v51, v9, 0xbec3ef15, v11
	v_fmac_f32_e32 v41, 0xbf6c835e, v9
	v_fmac_f32_e32 v51, 0x3f6c835e, v5
	v_sub_f32_e32 v9, v57, v21
	v_add_f32_e32 v64, v15, v16
	v_fma_f32 v5, v7, 2.0, -v41
	v_fma_f32 v7, v11, 2.0, -v51
	;; [unrolled: 1-line block ×4, first 2 shown]
	v_fmamk_f32 v15, v69, 0x3ec3ef15, v72
	v_fmamk_f32 v75, v70, 0x3ec3ef15, v73
	v_fmac_f32_e32 v15, 0xbf6c835e, v70
	v_fmamk_f32 v21, v31, 0x3f3504f3, v35
	v_fmamk_f32 v70, v46, 0x3f3504f3, v54
	v_fmac_f32_e32 v21, 0xbf3504f3, v46
	v_fmac_f32_e32 v70, 0x3f3504f3, v31
	v_fma_f32 v31, v35, 2.0, -v21
	v_fma_f32 v35, v54, 2.0, -v70
	v_fmamk_f32 v54, v71, 0x3f6c835e, v63
	v_fmamk_f32 v46, v68, 0x3f6c835e, v55
	v_fmac_f32_e32 v54, 0x3ec3ef15, v68
	v_lshl_add_u32 v68, v0, 2, v52
	v_lshlrev_b32_e32 v0, 4, v79
	v_and_or_b32 v0, v0, s2, v1
	v_fma_f32 v37, v37, 2.0, -v53
	v_fmac_f32_e32 v75, 0x3f6c835e, v69
	v_fma_f32 v16, v72, 2.0, -v15
	v_fmac_f32_e32 v46, 0xbec3ef15, v71
	s_barrier
	ds_write2_b32 v68, v32, v12 offset1:8
	ds_write2_b32 v68, v22, v4 offset0:16 offset1:24
	ds_write2_b32 v68, v10, v18 offset0:32 offset1:40
	;; [unrolled: 1-line block ×7, first 2 shown]
	v_lshl_add_u32 v8, v0, 2, v52
	v_fma_f32 v69, v73, 2.0, -v75
	v_fma_f32 v55, v55, 2.0, -v46
	;; [unrolled: 1-line block ×3, first 2 shown]
	ds_write2_b32 v8, v23, v13 offset1:8
	ds_write2_b32 v8, v27, v5 offset0:16 offset1:24
	ds_write2_b32 v8, v11, v16 offset0:32 offset1:40
	;; [unrolled: 1-line block ×7, first 2 shown]
	s_waitcnt lgkmcnt(0)
	s_barrier
	ds_read_b32 v71, v58
	ds_read2st64_b32 v[10:11], v111 offset0:16 offset1:18
	ds_read2st64_b32 v[12:13], v111 offset0:32 offset1:34
	;; [unrolled: 1-line block ×3, first 2 shown]
	ds_read_b32 v72, v112
	ds_read_b32 v73, v65
	;; [unrolled: 1-line block ×3, first 2 shown]
	ds_read2st64_b32 v[16:17], v111 offset0:20 offset1:22
	ds_read2st64_b32 v[18:19], v111 offset0:36 offset1:38
	;; [unrolled: 1-line block ×11, first 2 shown]
	s_waitcnt lgkmcnt(0)
	s_barrier
	ds_write2_b32 v68, v37, v66 offset1:8
	ds_write2_b32 v68, v34, v6 offset0:16 offset1:24
	ds_write2_b32 v68, v48, v61 offset0:32 offset1:40
	ds_write2_b32 v68, v36, v50 offset0:48 offset1:56
	ds_write2_b32 v68, v53, v60 offset0:64 offset1:72
	ds_write2_b32 v68, v67, v38 offset0:80 offset1:88
	ds_write2_b32 v68, v43, v56 offset0:96 offset1:104
	ds_write2_b32 v68, v62, v49 offset0:112 offset1:120
	ds_write2_b32 v8, v40, v42 offset1:8
	ds_write2_b32 v8, v39, v7 offset0:16 offset1:24
	ds_write2_b32 v8, v57, v69 offset0:32 offset1:40
	;; [unrolled: 1-line block ×7, first 2 shown]
	v_mul_u32_u24_e32 v6, 3, v88
	v_lshlrev_b32_e32 v36, 3, v6
	s_waitcnt lgkmcnt(0)
	s_barrier
	global_load_dwordx4 v[6:9], v36, s[16:17] offset:960
	global_load_dwordx2 v[34:35], v36, s[16:17] offset:976
	ds_read_b32 v53, v58
	ds_read2st64_b32 v[36:37], v111 offset0:16 offset1:18
	ds_read2st64_b32 v[38:39], v111 offset0:32 offset1:34
	;; [unrolled: 1-line block ×3, first 2 shown]
	ds_read_b32 v64, v112
	ds_read_b32 v70, v65
	;; [unrolled: 1-line block ×3, first 2 shown]
	ds_read2st64_b32 v[42:43], v111 offset0:20 offset1:22
	ds_read2st64_b32 v[44:45], v111 offset0:36 offset1:38
	ds_read2st64_b32 v[46:47], v111 offset0:52 offset1:54
	ds_read2st64_b32 v[48:49], v111 offset0:8 offset1:10
	ds_read2st64_b32 v[50:51], v111 offset0:24 offset1:26
	ds_read2st64_b32 v[54:55], v111 offset0:40 offset1:42
	ds_read2st64_b32 v[56:57], v111 offset0:56 offset1:58
	ds_read2st64_b32 v[60:61], v111 offset0:12 offset1:14
	ds_read2st64_b32 v[62:63], v111 offset0:28 offset1:30
	ds_read2st64_b32 v[66:67], v111 offset0:44 offset1:46
	ds_read2st64_b32 v[68:69], v111 offset0:60 offset1:62
	s_waitcnt lgkmcnt(0)
	s_barrier
	s_waitcnt vmcnt(1)
	v_mul_f32_e32 v75, v36, v7
	v_fma_f32 v75, v10, v6, -v75
	v_mul_f32_e32 v10, v10, v7
	v_fmac_f32_e32 v10, v36, v6
	v_mul_f32_e32 v36, v38, v9
	v_fma_f32 v36, v12, v8, -v36
	v_mul_f32_e32 v12, v12, v9
	v_fmac_f32_e32 v12, v38, v8
	s_waitcnt vmcnt(0)
	v_mul_f32_e32 v38, v40, v35
	v_fma_f32 v38, v14, v34, -v38
	v_mul_f32_e32 v14, v14, v35
	v_fmac_f32_e32 v14, v40, v34
	v_mul_f32_e32 v40, v37, v7
	v_fma_f32 v40, v11, v6, -v40
	v_mul_f32_e32 v11, v11, v7
	v_fmac_f32_e32 v11, v37, v6
	;; [unrolled: 4-line block ×19, first 2 shown]
	v_mul_f32_e32 v68, v63, v7
	v_mul_f32_e32 v7, v29, v7
	v_fma_f32 v68, v29, v6, -v68
	v_fmac_f32_e32 v7, v63, v6
	v_mul_f32_e32 v6, v67, v9
	v_mul_f32_e32 v9, v31, v9
	v_fma_f32 v6, v31, v8, -v6
	v_fmac_f32_e32 v9, v67, v8
	v_mul_f32_e32 v8, v69, v35
	v_mul_f32_e32 v29, v33, v35
	v_sub_f32_e32 v12, v53, v12
	v_sub_f32_e32 v14, v10, v14
	v_fma_f32 v8, v33, v34, -v8
	v_fmac_f32_e32 v29, v69, v34
	v_fma_f32 v34, v53, 2.0, -v12
	v_fma_f32 v10, v10, 2.0, -v14
	v_sub_f32_e32 v10, v34, v10
	v_sub_f32_e32 v13, v70, v13
	;; [unrolled: 1-line block ×5, first 2 shown]
	v_fma_f32 v53, v34, 2.0, -v10
	v_sub_f32_e32 v34, v73, v37
	v_fma_f32 v37, v70, 2.0, -v13
	v_fma_f32 v11, v11, 2.0, -v15
	;; [unrolled: 1-line block ×4, first 2 shown]
	v_sub_f32_e32 v38, v40, v39
	v_sub_f32_e32 v11, v37, v11
	;; [unrolled: 1-line block ×3, first 2 shown]
	v_add_f32_e32 v114, v12, v35
	v_fma_f32 v35, v73, 2.0, -v34
	v_fma_f32 v39, v40, 2.0, -v38
	;; [unrolled: 1-line block ×3, first 2 shown]
	v_sub_f32_e32 v37, v113, v42
	v_sub_f32_e32 v44, v41, v44
	v_fma_f32 v33, v33, 2.0, -v36
	v_sub_f32_e32 v14, v31, v14
	v_sub_f32_e32 v39, v35, v39
	;; [unrolled: 1-line block ×3, first 2 shown]
	v_add_f32_e32 v115, v13, v38
	v_fma_f32 v38, v113, 2.0, -v37
	v_sub_f32_e32 v20, v16, v20
	v_fma_f32 v41, v41, 2.0, -v44
	v_fma_f32 v31, v31, 2.0, -v14
	;; [unrolled: 1-line block ×5, first 2 shown]
	v_sub_f32_e32 v41, v38, v41
	v_sub_f32_e32 v20, v37, v20
	;; [unrolled: 1-line block ×4, first 2 shown]
	ds_write_b32 v111, v33
	ds_write_b32 v65, v31
	;; [unrolled: 1-line block ×4, first 2 shown]
	v_lshl_add_u32 v14, v90, 2, v52
	v_lshl_add_u32 v90, v97, 2, v52
	;; [unrolled: 1-line block ×3, first 2 shown]
	v_fma_f32 v38, v38, 2.0, -v41
	v_fma_f32 v37, v37, 2.0, -v20
	;; [unrolled: 1-line block ×3, first 2 shown]
	v_sub_f32_e32 v21, v17, v21
	v_fma_f32 v46, v46, 2.0, -v45
	ds_write_b32 v3, v35
	ds_write_b32 v14, v34
	;; [unrolled: 1-line block ×4, first 2 shown]
	v_lshl_add_u32 v15, v78, 2, v52
	v_fma_f32 v17, v17, 2.0, -v21
	v_sub_f32_e32 v46, v63, v46
	v_sub_f32_e32 v21, v43, v21
	ds_write_b32 v15, v38
	ds_write_b32 v91, v37
	;; [unrolled: 1-line block ×3, first 2 shown]
	v_lshl_add_u32 v41, v105, 2, v52
	v_fma_f32 v63, v63, 2.0, -v46
	v_fma_f32 v43, v43, 2.0, -v21
	v_sub_f32_e32 v50, v4, v50
	v_sub_f32_e32 v54, v47, v54
	ds_write_b32 v41, v20
	v_lshl_add_u32 v20, v84, 2, v52
	v_lshl_add_u32 v84, v92, 2, v52
	v_sub_f32_e32 v24, v48, v24
	v_fma_f32 v4, v4, 2.0, -v50
	v_fma_f32 v47, v47, 2.0, -v54
	ds_write_b32 v20, v63
	ds_write_b32 v84, v43
	v_lshl_add_u32 v43, v99, 2, v52
	v_sub_f32_e32 v26, v22, v26
	v_sub_f32_e32 v47, v4, v47
	v_add_f32_e32 v54, v24, v54
	ds_write_b32 v43, v46
	v_lshl_add_u32 v46, v106, 2, v52
	v_fma_f32 v48, v48, 2.0, -v24
	v_fma_f32 v22, v22, 2.0, -v26
	;; [unrolled: 1-line block ×3, first 2 shown]
	v_sub_f32_e32 v26, v50, v26
	v_fma_f32 v116, v24, 2.0, -v54
	v_sub_f32_e32 v24, v5, v51
	v_sub_f32_e32 v51, v56, v55
	ds_write_b32 v46, v21
	v_lshl_add_u32 v21, v85, 2, v52
	v_fma_f32 v50, v50, 2.0, -v26
	v_fma_f32 v5, v5, 2.0, -v24
	;; [unrolled: 1-line block ×3, first 2 shown]
	ds_write_b32 v21, v4
	v_lshl_add_u32 v4, v93, 2, v52
	v_sub_f32_e32 v27, v23, v27
	v_sub_f32_e32 v55, v5, v55
	;; [unrolled: 1-line block ×6, first 2 shown]
	ds_write_b32 v4, v50
	v_lshl_add_u32 v50, v100, 2, v52
	v_fma_f32 v23, v23, 2.0, -v27
	v_fma_f32 v5, v5, 2.0, -v55
	v_sub_f32_e32 v27, v24, v27
	v_fma_f32 v0, v0, 2.0, -v56
	v_fma_f32 v60, v60, 2.0, -v30
	v_fma_f32 v57, v57, 2.0, -v62
	v_fma_f32 v28, v28, 2.0, -v32
	ds_write_b32 v50, v47
	v_lshl_add_u32 v47, v107, 2, v52
	v_lshl_add_u32 v85, v86, 2, v52
	v_fma_f32 v24, v24, 2.0, -v27
	v_sub_f32_e32 v57, v0, v57
	v_sub_f32_e32 v117, v60, v28
	;; [unrolled: 1-line block ×5, first 2 shown]
	ds_write_b32 v47, v26
	ds_write_b32 v85, v5
	v_lshl_add_u32 v5, v94, 2, v52
	v_lshl_add_u32 v86, v101, 2, v52
	v_fma_f32 v0, v0, 2.0, -v57
	v_fma_f32 v32, v56, 2.0, -v28
	v_fma_f32 v1, v1, 2.0, -v6
	v_fma_f32 v56, v68, 2.0, -v8
	ds_write_b32 v5, v24
	ds_write_b32 v86, v55
	v_lshl_add_u32 v55, v108, 2, v52
	v_sub_f32_e32 v29, v7, v29
	v_sub_f32_e32 v56, v1, v56
	ds_write_b32 v55, v27
	ds_write_b32 v87, v0
	v_lshl_add_u32 v0, v95, 2, v52
	v_lshl_add_u32 v92, v102, 2, v52
	v_sub_f32_e32 v19, v64, v19
	v_add_f32_e32 v119, v30, v62
	v_sub_f32_e32 v9, v61, v9
	v_fma_f32 v7, v7, 2.0, -v29
	v_fma_f32 v1, v1, 2.0, -v56
	v_sub_f32_e32 v29, v6, v29
	ds_write_b32 v0, v32
	ds_write_b32 v92, v57
	v_lshl_add_u32 v57, v109, 2, v52
	v_fma_f32 v64, v64, 2.0, -v19
	v_fma_f32 v120, v30, 2.0, -v119
	;; [unrolled: 1-line block ×4, first 2 shown]
	ds_write_b32 v57, v28
	ds_write_b32 v89, v1
	v_lshl_add_u32 v1, v96, 2, v52
	v_sub_f32_e32 v18, v74, v18
	v_sub_f32_e32 v17, v64, v17
	;; [unrolled: 1-line block ×3, first 2 shown]
	ds_write_b32 v1, v6
	v_lshl_add_u32 v6, v103, 2, v52
	v_lshl_add_u32 v52, v110, 2, v52
	v_fma_f32 v42, v74, 2.0, -v18
	v_fma_f32 v113, v64, 2.0, -v17
	;; [unrolled: 1-line block ×4, first 2 shown]
	ds_write_b32 v6, v56
	ds_write_b32 v52, v29
	s_waitcnt lgkmcnt(0)
	s_barrier
	ds_read_b32 v78, v58
	ds_read2st64_b32 v[68:69], v111 offset0:8 offset1:10
	ds_read2st64_b32 v[60:61], v111 offset0:16 offset1:18
	;; [unrolled: 1-line block ×7, first 2 shown]
	ds_read_b32 v24, v112
	ds_read_b32 v64, v65
	;; [unrolled: 1-line block ×3, first 2 shown]
	ds_read2st64_b32 v[34:35], v111 offset0:12 offset1:14
	ds_read2st64_b32 v[26:27], v111 offset0:20 offset1:22
	;; [unrolled: 1-line block ×7, first 2 shown]
	v_sub_f32_e32 v25, v49, v25
	v_fma_f32 v49, v49, 2.0, -v25
	v_sub_f32_e32 v16, v42, v16
	v_add_f32_e32 v44, v18, v44
	v_add_f32_e32 v45, v19, v45
	v_sub_f32_e32 v22, v48, v22
	v_sub_f32_e32 v23, v49, v23
	v_add_f32_e32 v51, v25, v51
	v_add_f32_e32 v8, v9, v8
	v_fma_f32 v12, v12, 2.0, -v114
	v_fma_f32 v13, v13, 2.0, -v115
	;; [unrolled: 1-line block ×9, first 2 shown]
	s_waitcnt lgkmcnt(0)
	s_barrier
	ds_write_b32 v111, v53
	ds_write_b32 v65, v12
	;; [unrolled: 1-line block ×32, first 2 shown]
	s_waitcnt lgkmcnt(0)
	s_barrier
	s_and_saveexec_b64 s[12:13], vcc
	s_cbranch_execz .LBB0_10
; %bb.9:
	v_mul_lo_u32 v0, s9, v80
	v_mul_lo_u32 v1, s8, v81
	v_mad_u64_u32 v[102:103], s[8:9], s8, v80, 0
	v_mad_u64_u32 v[104:105], s[8:9], s10, v2, 0
	v_add3_u32 v103, v103, v1, v0
	v_mov_b32_e32 v0, v105
	v_mad_u64_u32 v[0:1], s[8:9], s11, v2, v[0:1]
	v_mul_i32_i24_e32 v80, 7, v83
	v_mov_b32_e32 v81, 0
	v_mov_b32_e32 v105, v0
	v_mul_lo_u32 v0, s7, v76
	v_mul_lo_u32 v1, s6, v77
	v_mad_u64_u32 v[106:107], s[6:7], s6, v76, 0
	v_lshl_add_u64 v[12:13], v[80:81], 3, s[16:17]
	v_add3_u32 v107, v107, v1, v0
	ds_read2st64_b32 v[40:41], v111 offset0:20 offset1:22
	global_load_dwordx2 v[42:43], v[12:13], off offset:4080
	global_load_dwordx4 v[8:11], v[12:13], off offset:4064
	global_load_dwordx4 v[4:7], v[12:13], off offset:4048
	;; [unrolled: 1-line block ×3, first 2 shown]
	v_mul_i32_i24_e32 v80, 7, v82
	v_mul_u32_u24_e32 v12, 7, v88
	v_lshl_add_u64 v[82:83], v[80:81], 3, s[16:17]
	v_lshlrev_b32_e32 v25, 3, v12
	v_mul_i32_i24_e32 v80, 7, v79
	ds_read2st64_b32 v[52:53], v111 offset0:52 offset1:54
	ds_read2st64_b32 v[54:55], v111 offset0:36 offset1:38
	;; [unrolled: 1-line block ×6, first 2 shown]
	global_load_dwordx4 v[90:93], v25, s[16:17] offset:4048
	global_load_dwordx2 v[108:109], v25, s[16:17] offset:4080
	global_load_dwordx4 v[94:97], v25, s[16:17] offset:4064
	global_load_dwordx2 v[76:77], v[82:83], off offset:4080
	global_load_dwordx4 v[20:23], v[82:83], off offset:4064
	global_load_dwordx4 v[16:19], v[82:83], off offset:4048
	;; [unrolled: 1-line block ×3, first 2 shown]
	v_lshl_add_u64 v[114:115], v[80:81], 3, s[16:17]
	ds_read2st64_b32 v[80:81], v111 offset0:16 offset1:18
	ds_read2st64_b32 v[86:87], v111 offset0:48 offset1:50
	global_load_dwordx4 v[98:101], v25, s[16:17] offset:4032
	s_load_dwordx2 s[0:1], s[0:1], 0x58
	v_and_b32_e32 v89, 0x1ff, v88
	ds_read2st64_b32 v[116:117], v111 offset0:32 offset1:34
	ds_read2st64_b32 v[118:119], v111 offset0:8 offset1:10
	;; [unrolled: 1-line block ×5, first 2 shown]
	ds_read_b32 v25, v112
	ds_read_b32 v65, v65
	;; [unrolled: 1-line block ×4, first 2 shown]
	v_mad_u64_u32 v[110:111], s[6:7], s4, v89, 0
	v_mov_b32_e32 v58, v111
	v_mad_u64_u32 v[58:59], s[6:7], s5, v89, v[58:59]
	v_mov_b32_e32 v111, v58
	s_waitcnt lgkmcnt(0)
	v_lshl_add_u64 v[58:59], v[104:105], 3, s[0:1]
	v_or_b32_e32 v105, 0x200, v89
	v_lshl_add_u64 v[58:59], v[102:103], 3, v[58:59]
	v_mad_u64_u32 v[102:103], s[0:1], s4, v105, 0
	v_mov_b32_e32 v104, v103
	v_lshl_add_u64 v[58:59], v[106:107], 3, v[58:59]
	v_mad_u64_u32 v[104:105], s[0:1], s5, v105, v[104:105]
	v_or_b32_e32 v107, 0x400, v89
	v_mov_b32_e32 v103, v104
	v_mad_u64_u32 v[104:105], s[0:1], s4, v107, 0
	v_mov_b32_e32 v106, v105
	v_mad_u64_u32 v[106:107], s[0:1], s5, v107, v[106:107]
	v_or_b32_e32 v113, 0x600, v89
	v_mov_b32_e32 v105, v106
	v_mad_u64_u32 v[106:107], s[0:1], s4, v113, 0
	v_mov_b32_e32 v112, v107
	;; [unrolled: 5-line block ×6, first 2 shown]
	v_mad_u64_u32 v[128:129], s[0:1], s5, v89, v[128:129]
	v_mov_b32_e32 v127, v128
	v_mov_b32_e32 v128, v74
	;; [unrolled: 1-line block ×5, first 2 shown]
	s_mov_b32 s0, s3
	v_lshl_add_u64 v[110:111], v[110:111], 3, v[58:59]
	v_lshl_add_u64 v[102:103], v[102:103], 3, v[58:59]
	v_lshl_add_u64 v[104:105], v[104:105], 3, v[58:59]
	v_lshl_add_u64 v[106:107], v[106:107], 3, v[58:59]
	s_waitcnt vmcnt(7)
	v_mov_b32_e32 v130, v92
	v_mov_b32_e32 v92, v116
	s_waitcnt vmcnt(5)
	v_mov_b32_e32 v131, v96
	v_mov_b32_e32 v96, v93
	;; [unrolled: 1-line block ×3, first 2 shown]
	v_pk_mul_f32 v[132:133], v[96:97], v[92:93]
	v_pk_mul_f32 v[92:93], v[130:131], v[92:93]
	v_pk_fma_f32 v[132:133], v[128:129], v[130:131], v[132:133] neg_lo:[0,0,1] neg_hi:[0,0,1]
	v_pk_fma_f32 v[92:93], v[128:129], v[96:97], v[92:93]
	s_waitcnt vmcnt(0)
	v_mov_b32_e32 v128, v98
	v_mov_b32_e32 v129, v90
	;; [unrolled: 1-line block ×10, first 2 shown]
	v_pk_mul_f32 v[94:95], v[90:91], v[98:99]
	v_pk_mul_f32 v[98:99], v[128:129], v[98:99]
	v_pk_fma_f32 v[94:95], v[96:97], v[128:129], v[94:95] neg_lo:[0,0,1] neg_hi:[0,0,1]
	v_mov_b32_e32 v128, v120
	v_mov_b32_e32 v129, v82
	v_pk_fma_f32 v[96:97], v[96:97], v[90:91], v[98:99]
	v_pk_mul_f32 v[90:91], v[108:109], v[128:129]
	v_lshl_add_u64 v[112:113], v[112:113], 3, v[58:59]
	v_pk_fma_f32 v[90:91], v[134:135], v[130:131], v[90:91] neg_lo:[0,0,1] neg_hi:[0,0,1]
	v_mov_b32_e32 v72, v75
	v_pk_add_f32 v[98:99], v[94:95], v[90:91] neg_lo:[0,1] neg_hi:[0,1]
	v_pk_mul_f32 v[90:91], v[130:131], v[128:129]
	v_pk_mul_f32 v[130:131], v[100:101], v[80:81] op_sel_hi:[1,0]
	v_pk_fma_f32 v[90:91], v[134:135], v[108:109], v[90:91]
	v_pk_fma_f32 v[134:135], v[60:61], v[100:101], v[130:131] op_sel:[0,0,1] op_sel_hi:[1,1,0] neg_lo:[0,0,1] neg_hi:[0,0,1]
	v_pk_fma_f32 v[100:101], v[60:61], v[100:101], v[130:131] op_sel:[0,0,1] op_sel_hi:[0,1,0]
	v_mov_b32_e32 v135, v101
	v_mov_b32_e32 v100, v78
	;; [unrolled: 1-line block ×5, first 2 shown]
	v_pk_add_f32 v[108:109], v[96:97], v[90:91] neg_lo:[0,1] neg_hi:[0,1]
	v_pk_add_f32 v[100:101], v[100:101], v[132:133] neg_lo:[0,1] neg_hi:[0,1]
	v_pk_add_f32 v[130:131], v[130:131], v[92:93] neg_lo:[0,1] neg_hi:[0,1]
	v_pk_add_f32 v[128:129], v[98:99], v[108:109] op_sel:[0,1] op_sel_hi:[1,0] neg_lo:[0,1] neg_hi:[0,1]
	v_pk_add_f32 v[90:91], v[98:99], v[108:109] op_sel:[0,1] op_sel_hi:[1,0]
	v_pk_add_f32 v[132:133], v[100:101], v[130:131] op_sel:[0,1] op_sel_hi:[1,0] neg_lo:[0,1] neg_hi:[0,1]
	v_pk_add_f32 v[92:93], v[100:101], v[130:131] op_sel:[0,1] op_sel_hi:[1,0]
	v_mov_b32_e32 v129, v91
	v_mov_b32_e32 v133, v93
	v_pk_mul_f32 v[90:91], v[128:129], s[0:1] op_sel_hi:[1,0]
	v_pk_fma_f32 v[92:93], v[128:129], s[0:1], v[132:133] op_sel_hi:[1,0,1]
	v_add_u32_e32 v60, 0x80, v88
	v_pk_add_f32 v[136:137], v[92:93], v[90:91] op_sel:[0,1] op_sel_hi:[1,0] neg_lo:[0,1] neg_hi:[0,1]
	v_pk_add_f32 v[138:139], v[92:93], v[90:91] op_sel:[0,1] op_sel_hi:[1,0]
	global_load_dwordx2 v[140:141], v[114:115], off offset:4080
	global_load_dwordx4 v[90:93], v[114:115], off offset:4064
	v_mov_b32_e32 v137, v139
	v_mov_b32_e32 v138, v100
	;; [unrolled: 1-line block ×4, first 2 shown]
	v_pk_fma_f32 v[78:79], v[78:79], 2.0, v[138:139] op_sel_hi:[1,0,1] neg_lo:[0,0,1] neg_hi:[0,0,1]
	v_pk_fma_f32 v[100:101], v[134:135], 2.0, v[130:131] op_sel_hi:[1,0,1] neg_lo:[0,0,1] neg_hi:[0,0,1]
	v_mov_b32_e32 v134, v108
	v_pk_add_f32 v[130:131], v[78:79], v[100:101] neg_lo:[0,1] neg_hi:[0,1]
	v_mov_b32_e32 v100, v96
	v_mov_b32_e32 v101, v94
	;; [unrolled: 1-line block ×6, first 2 shown]
	v_pk_fma_f32 v[134:135], v[100:101], 2.0, v[134:135] op_sel_hi:[1,0,1] neg_lo:[0,0,1] neg_hi:[0,0,1]
	v_pk_fma_f32 v[94:95], v[94:95], 2.0, v[96:97] op_sel_hi:[1,0,1] neg_lo:[0,0,1] neg_hi:[0,0,1]
	v_mov_b32_e32 v99, v108
	v_pk_add_f32 v[142:143], v[134:135], v[94:95] neg_lo:[0,1] neg_hi:[0,1]
	v_pk_fma_f32 v[108:109], v[138:139], 2.0, v[132:133] op_sel_hi:[1,0,1] neg_lo:[0,0,1] neg_hi:[0,0,1]
	v_pk_add_f32 v[144:145], v[130:131], v[142:143] neg_lo:[0,1] neg_hi:[0,1]
	v_pk_add_f32 v[94:95], v[130:131], v[142:143]
	v_pk_fma_f32 v[78:79], v[78:79], 2.0, v[130:131] op_sel_hi:[1,0,1] neg_lo:[0,0,1] neg_hi:[0,0,1]
	v_mov_b32_e32 v145, v95
	v_pk_fma_f32 v[94:95], v[98:99], 2.0, v[128:129] op_sel_hi:[1,0,1] neg_lo:[0,0,1] neg_hi:[0,0,1]
	v_lshlrev_b32_e32 v62, 3, v60
	v_pk_mul_f32 v[96:97], v[94:95], s[0:1] op_sel_hi:[1,0]
	v_pk_fma_f32 v[94:95], v[94:95], s[0:1], v[108:109] op_sel_hi:[1,0,1] neg_lo:[1,0,0] neg_hi:[1,0,0]
	v_and_b32_e32 v60, 0x1ff, v60
	v_pk_add_f32 v[128:129], v[94:95], v[96:97] op_sel:[0,1] op_sel_hi:[1,0] neg_lo:[0,1] neg_hi:[0,1]
	v_pk_add_f32 v[94:95], v[94:95], v[96:97] op_sel:[0,1] op_sel_hi:[1,0]
	s_movk_i32 s1, 0xf000
	v_mov_b32_e32 v129, v95
	global_load_dwordx4 v[94:97], v[114:115], off offset:4048
	global_load_dwordx4 v[98:101], v[114:115], off offset:4032
	v_lshl_add_u64 v[114:115], v[122:123], 3, v[58:59]
	v_lshl_add_u64 v[122:123], v[124:125], 3, v[58:59]
	;; [unrolled: 1-line block ×3, first 2 shown]
	v_pk_fma_f32 v[126:127], v[134:135], 2.0, v[142:143] op_sel_hi:[1,0,1] neg_lo:[0,0,1] neg_hi:[0,0,1]
	v_and_or_b32 v62, v62, s1, v60
	v_pk_add_f32 v[126:127], v[78:79], v[126:127] op_sel:[0,1] op_sel_hi:[1,0] neg_lo:[0,1] neg_hi:[0,1]
	v_or_b32_e32 v66, 0x200, v62
	v_pk_fma_f32 v[78:79], v[78:79], 2.0, v[126:127] op_sel_hi:[1,0,1] neg_lo:[0,0,1] neg_hi:[0,0,1]
	global_store_dwordx2 v[110:111], v[78:79], off
	v_pk_fma_f32 v[78:79], v[108:109], 2.0, v[128:129] op_sel_hi:[1,0,1] neg_lo:[0,0,1] neg_hi:[0,0,1]
	global_store_dwordx2 v[102:103], v[78:79], off
	;; [unrolled: 2-line block ×4, first 2 shown]
	global_store_dwordx2 v[112:113], v[126:127], off
	global_store_dwordx2 v[114:115], v[128:129], off
	;; [unrolled: 1-line block ×4, first 2 shown]
	v_mad_u64_u32 v[78:79], s[2:3], s4, v62, 0
	v_mov_b32_e32 v60, v79
	v_mad_u64_u32 v[102:103], s[2:3], s5, v62, v[60:61]
	v_mov_b32_e32 v79, v102
	;; [unrolled: 2-line block ×3, first 2 shown]
	v_mad_u64_u32 v[104:105], s[2:3], s5, v66, v[60:61]
	v_or_b32_e32 v66, 0x400, v62
	v_mov_b32_e32 v103, v104
	v_mad_u64_u32 v[104:105], s[2:3], s4, v66, 0
	v_mov_b32_e32 v60, v105
	v_mad_u64_u32 v[106:107], s[2:3], s5, v66, v[60:61]
	v_or_b32_e32 v66, 0x600, v62
	v_mov_b32_e32 v105, v106
	v_mad_u64_u32 v[106:107], s[2:3], s4, v66, 0
	v_mov_b32_e32 v60, v107
	;; [unrolled: 5-line block ×5, first 2 shown]
	v_mad_u64_u32 v[114:115], s[2:3], s5, v66, v[60:61]
	v_or_b32_e32 v62, 0xe00, v62
	v_mov_b32_e32 v113, v114
	v_mad_u64_u32 v[114:115], s[2:3], s4, v62, 0
	s_waitcnt vmcnt(10)
	v_mov_b32_e32 v75, v92
	v_mov_b32_e32 v86, v117
	;; [unrolled: 1-line block ×3, first 2 shown]
	v_mad_u64_u32 v[122:123], s[2:3], s5, v62, v[60:61]
	v_mov_b32_e32 v62, v69
	v_mov_b32_e32 v84, v119
	v_mov_b32_e32 v66, v71
	v_mov_b32_e32 v70, v90
	v_mov_b32_e32 v71, v140
	v_mov_b32_e32 v140, v91
	v_mov_b32_e32 v82, v121
	v_mov_b32_e32 v60, v61
	s_waitcnt vmcnt(9)
	v_mov_b32_e32 v92, v97
	v_mov_b32_e32 v74, v96
	v_pk_mul_f32 v[96:97], v[92:93], v[86:87]
	v_mov_b32_e32 v69, v94
	v_pk_fma_f32 v[96:97], v[72:73], v[74:75], v[96:97] neg_lo:[0,0,1] neg_hi:[0,0,1]
	v_pk_mul_f32 v[74:75], v[74:75], v[86:87]
	s_waitcnt vmcnt(8)
	v_mov_b32_e32 v94, v99
	v_pk_fma_f32 v[72:73], v[72:73], v[92:93], v[74:75]
	v_mov_b32_e32 v68, v98
	v_pk_mul_f32 v[74:75], v[94:95], v[84:85]
	v_pk_mul_f32 v[86:87], v[140:141], v[82:83]
	v_pk_fma_f32 v[74:75], v[62:63], v[68:69], v[74:75] neg_lo:[0,0,1] neg_hi:[0,0,1]
	v_pk_mul_f32 v[68:69], v[68:69], v[84:85]
	v_mov_b32_e32 v80, v61
	v_pk_fma_f32 v[62:63], v[62:63], v[94:95], v[68:69]
	v_pk_mul_f32 v[68:69], v[70:71], v[82:83]
	v_mov_b32_e32 v82, v81
	v_pk_mul_f32 v[82:83], v[100:101], v[82:83] op_sel_hi:[1,0]
	v_pk_fma_f32 v[86:87], v[66:67], v[70:71], v[86:87] neg_lo:[0,0,1] neg_hi:[0,0,1]
	v_pk_fma_f32 v[60:61], v[60:61], v[100:101], v[82:83] op_sel:[0,0,1] op_sel_hi:[1,1,0] neg_lo:[0,0,1] neg_hi:[0,0,1]
	v_pk_fma_f32 v[80:81], v[80:81], v[100:101], v[82:83] op_sel:[0,0,1] op_sel_hi:[0,1,0]
	v_mov_b32_e32 v61, v81
	v_pk_fma_f32 v[66:67], v[66:67], v[140:141], v[68:69]
	v_mov_b32_e32 v80, v64
	v_mov_b32_e32 v81, v60
	;; [unrolled: 1-line block ×4, first 2 shown]
	v_pk_add_f32 v[86:87], v[74:75], v[86:87] neg_lo:[0,1] neg_hi:[0,1]
	v_pk_add_f32 v[66:67], v[62:63], v[66:67] neg_lo:[0,1] neg_hi:[0,1]
	;; [unrolled: 1-line block ×4, first 2 shown]
	v_pk_add_f32 v[68:69], v[86:87], v[66:67] op_sel:[0,1] op_sel_hi:[1,0] neg_lo:[0,1] neg_hi:[0,1]
	v_pk_add_f32 v[70:71], v[86:87], v[66:67] op_sel:[0,1] op_sel_hi:[1,0]
	v_pk_add_f32 v[82:83], v[80:81], v[72:73] op_sel:[0,1] op_sel_hi:[1,0] neg_lo:[0,1] neg_hi:[0,1]
	v_pk_add_f32 v[84:85], v[80:81], v[72:73] op_sel:[0,1] op_sel_hi:[1,0]
	v_mov_b32_e32 v69, v71
	v_mov_b32_e32 v83, v85
	v_pk_mul_f32 v[70:71], v[68:69], s[0:1] op_sel_hi:[1,0]
	v_pk_fma_f32 v[84:85], v[68:69], s[0:1], v[82:83] op_sel_hi:[1,0,1]
	v_lshl_add_u64 v[78:79], v[78:79], 3, v[58:59]
	v_pk_add_f32 v[90:91], v[84:85], v[70:71] op_sel:[0,1] op_sel_hi:[1,0] neg_lo:[0,1] neg_hi:[0,1]
	v_pk_add_f32 v[70:71], v[84:85], v[70:71] op_sel:[0,1] op_sel_hi:[1,0]
	v_lshl_add_u64 v[102:103], v[102:103], 3, v[58:59]
	v_mov_b32_e32 v91, v71
	v_mov_b32_e32 v71, v72
	;; [unrolled: 1-line block ×4, first 2 shown]
	v_pk_fma_f32 v[60:61], v[60:61], 2.0, v[72:73] op_sel_hi:[1,0,1] neg_lo:[0,0,1] neg_hi:[0,0,1]
	v_mov_b32_e32 v72, v62
	v_mov_b32_e32 v73, v74
	;; [unrolled: 1-line block ×7, first 2 shown]
	v_pk_fma_f32 v[64:65], v[64:65], 2.0, v[70:71] op_sel_hi:[1,0,1] neg_lo:[0,0,1] neg_hi:[0,0,1]
	v_pk_fma_f32 v[72:73], v[72:73], 2.0, v[80:81] op_sel_hi:[1,0,1] neg_lo:[0,0,1] neg_hi:[0,0,1]
	;; [unrolled: 1-line block ×3, first 2 shown]
	v_mov_b32_e32 v87, v66
	v_pk_add_f32 v[60:61], v[64:65], v[60:61] neg_lo:[0,1] neg_hi:[0,1]
	v_pk_add_f32 v[62:63], v[72:73], v[62:63] neg_lo:[0,1] neg_hi:[0,1]
	v_pk_fma_f32 v[66:67], v[86:87], 2.0, v[68:69] op_sel_hi:[1,0,1] neg_lo:[0,0,1] neg_hi:[0,0,1]
	v_pk_fma_f32 v[70:71], v[70:71], 2.0, v[82:83] op_sel_hi:[1,0,1] neg_lo:[0,0,1] neg_hi:[0,0,1]
	v_pk_add_f32 v[74:75], v[60:61], v[62:63] neg_lo:[0,1] neg_hi:[0,1]
	v_pk_add_f32 v[80:81], v[60:61], v[62:63]
	v_pk_mul_f32 v[68:69], v[66:67], s[0:1] op_sel_hi:[1,0]
	v_pk_fma_f32 v[66:67], v[66:67], s[0:1], v[70:71] op_sel_hi:[1,0,1] neg_lo:[1,0,0] neg_hi:[1,0,0]
	v_pk_fma_f32 v[64:65], v[64:65], 2.0, v[60:61] op_sel_hi:[1,0,1] neg_lo:[0,0,1] neg_hi:[0,0,1]
	v_pk_fma_f32 v[62:63], v[72:73], 2.0, v[62:63] op_sel_hi:[1,0,1] neg_lo:[0,0,1] neg_hi:[0,0,1]
	v_mov_b32_e32 v75, v81
	v_pk_add_f32 v[80:81], v[66:67], v[68:69] op_sel:[0,1] op_sel_hi:[1,0] neg_lo:[0,1] neg_hi:[0,1]
	v_pk_add_f32 v[66:67], v[66:67], v[68:69] op_sel:[0,1] op_sel_hi:[1,0]
	v_pk_add_f32 v[62:63], v[64:65], v[62:63] op_sel:[0,1] op_sel_hi:[1,0] neg_lo:[0,1] neg_hi:[0,1]
	v_mov_b32_e32 v81, v67
	v_pk_fma_f32 v[64:65], v[64:65], 2.0, v[62:63] op_sel_hi:[1,0,1] neg_lo:[0,0,1] neg_hi:[0,0,1]
	v_lshl_add_u64 v[104:105], v[104:105], 3, v[58:59]
	global_store_dwordx2 v[78:79], v[64:65], off
	v_pk_fma_f32 v[64:65], v[70:71], 2.0, v[80:81] op_sel_hi:[1,0,1] neg_lo:[0,0,1] neg_hi:[0,0,1]
	v_pk_fma_f32 v[60:61], v[60:61], 2.0, v[74:75] op_sel_hi:[1,0,1] neg_lo:[0,0,1] neg_hi:[0,0,1]
	v_lshl_add_u64 v[106:107], v[106:107], 3, v[58:59]
	v_mov_b32_e32 v115, v122
	global_store_dwordx2 v[102:103], v[64:65], off
	global_store_dwordx2 v[104:105], v[60:61], off
	v_pk_fma_f32 v[60:61], v[82:83], 2.0, v[90:91] op_sel_hi:[1,0,1] neg_lo:[0,0,1] neg_hi:[0,0,1]
	v_lshl_add_u64 v[108:109], v[108:109], 3, v[58:59]
	v_lshl_add_u64 v[110:111], v[110:111], 3, v[58:59]
	;; [unrolled: 1-line block ×4, first 2 shown]
	global_store_dwordx2 v[106:107], v[60:61], off
	global_store_dwordx2 v[108:109], v[62:63], off
	;; [unrolled: 1-line block ×5, first 2 shown]
	v_add_u32_e32 v60, 0x100, v88
	v_lshlrev_b32_e32 v61, 3, v60
	v_and_b32_e32 v60, 0x1ff, v60
	v_and_or_b32 v78, v61, s1, v60
	v_mad_u64_u32 v[60:61], s[2:3], s4, v78, 0
	v_mov_b32_e32 v62, v61
	v_mad_u64_u32 v[62:63], s[2:3], s5, v78, v[62:63]
	v_or_b32_e32 v65, 0x200, v78
	v_mov_b32_e32 v61, v62
	v_mad_u64_u32 v[62:63], s[2:3], s4, v65, 0
	v_mov_b32_e32 v64, v63
	v_mad_u64_u32 v[64:65], s[2:3], s5, v65, v[64:65]
	v_or_b32_e32 v67, 0x400, v78
	v_mov_b32_e32 v63, v64
	;; [unrolled: 5-line block ×7, first 2 shown]
	v_mad_u64_u32 v[74:75], s[2:3], s4, v79, 0
	v_mov_b32_e32 v78, v75
	v_mad_u64_u32 v[78:79], s[2:3], s5, v79, v[78:79]
	v_mov_b32_e32 v80, v18
	v_mov_b32_e32 v81, v22
	;; [unrolled: 1-line block ×8, first 2 shown]
	v_pk_mul_f32 v[82:83], v[22:23], v[18:19]
	v_pk_mul_f32 v[18:19], v[80:81], v[18:19]
	v_pk_fma_f32 v[82:83], v[78:79], v[80:81], v[82:83] neg_lo:[0,0,1] neg_hi:[0,0,1]
	v_pk_fma_f32 v[18:19], v[78:79], v[22:23], v[18:19]
	v_mov_b32_e32 v78, v12
	v_mov_b32_e32 v79, v16
	;; [unrolled: 1-line block ×7, first 2 shown]
	v_pk_mul_f32 v[80:81], v[16:17], v[12:13]
	v_mov_b32_e32 v86, v20
	v_mov_b32_e32 v87, v76
	;; [unrolled: 1-line block ×5, first 2 shown]
	v_pk_mul_f32 v[12:13], v[78:79], v[12:13]
	v_mov_b32_e32 v84, v32
	v_mov_b32_e32 v85, v30
	v_pk_fma_f32 v[12:13], v[22:23], v[16:17], v[12:13]
	v_pk_mul_f32 v[16:17], v[86:87], v[20:21]
	v_pk_mul_f32 v[90:91], v[76:77], v[20:21]
	v_pk_fma_f32 v[16:17], v[84:85], v[76:77], v[16:17]
	v_pk_mul_f32 v[76:77], v[14:15], v[40:41] op_sel_hi:[1,0]
	v_pk_fma_f32 v[80:81], v[22:23], v[78:79], v[80:81] neg_lo:[0,0,1] neg_hi:[0,0,1]
	v_pk_fma_f32 v[78:79], v[26:27], v[14:15], v[76:77] op_sel:[0,0,1] op_sel_hi:[1,1,0] neg_lo:[0,0,1] neg_hi:[0,0,1]
	v_pk_fma_f32 v[14:15], v[26:27], v[14:15], v[76:77] op_sel:[0,0,1] op_sel_hi:[0,1,0]
	v_mov_b32_e32 v79, v15
	v_pk_fma_f32 v[90:91], v[84:85], v[86:87], v[90:91] neg_lo:[0,0,1] neg_hi:[0,0,1]
	v_mov_b32_e32 v14, v56
	v_mov_b32_e32 v15, v78
	;; [unrolled: 1-line block ×4, first 2 shown]
	v_pk_add_f32 v[90:91], v[80:81], v[90:91] neg_lo:[0,1] neg_hi:[0,1]
	v_pk_add_f32 v[16:17], v[12:13], v[16:17] neg_lo:[0,1] neg_hi:[0,1]
	;; [unrolled: 1-line block ×4, first 2 shown]
	v_pk_add_f32 v[20:21], v[90:91], v[16:17] op_sel:[0,1] op_sel_hi:[1,0] neg_lo:[0,1] neg_hi:[0,1]
	v_pk_add_f32 v[22:23], v[90:91], v[16:17] op_sel:[0,1] op_sel_hi:[1,0]
	v_pk_add_f32 v[76:77], v[14:15], v[18:19] op_sel:[0,1] op_sel_hi:[1,0] neg_lo:[0,1] neg_hi:[0,1]
	v_pk_add_f32 v[82:83], v[14:15], v[18:19] op_sel:[0,1] op_sel_hi:[1,0]
	v_mov_b32_e32 v21, v23
	v_mov_b32_e32 v77, v83
	v_pk_mul_f32 v[22:23], v[20:21], s[0:1] op_sel_hi:[1,0]
	v_pk_fma_f32 v[82:83], v[20:21], s[0:1], v[76:77] op_sel_hi:[1,0,1]
	v_lshl_add_u64 v[60:61], v[60:61], 3, v[58:59]
	v_pk_add_f32 v[84:85], v[82:83], v[22:23] op_sel:[0,1] op_sel_hi:[1,0] neg_lo:[0,1] neg_hi:[0,1]
	v_pk_add_f32 v[22:23], v[82:83], v[22:23] op_sel:[0,1] op_sel_hi:[1,0]
	v_lshl_add_u64 v[62:63], v[62:63], 3, v[58:59]
	v_mov_b32_e32 v85, v23
	v_mov_b32_e32 v23, v18
	;; [unrolled: 1-line block ×4, first 2 shown]
	v_pk_fma_f32 v[14:15], v[78:79], 2.0, v[18:19] op_sel_hi:[1,0,1] neg_lo:[0,0,1] neg_hi:[0,0,1]
	v_mov_b32_e32 v18, v12
	v_mov_b32_e32 v19, v80
	;; [unrolled: 1-line block ×7, first 2 shown]
	v_pk_fma_f32 v[56:57], v[56:57], 2.0, v[22:23] op_sel_hi:[1,0,1] neg_lo:[0,0,1] neg_hi:[0,0,1]
	v_pk_fma_f32 v[18:19], v[18:19], 2.0, v[78:79] op_sel_hi:[1,0,1] neg_lo:[0,0,1] neg_hi:[0,0,1]
	;; [unrolled: 1-line block ×3, first 2 shown]
	v_mov_b32_e32 v91, v16
	v_pk_add_f32 v[14:15], v[56:57], v[14:15] neg_lo:[0,1] neg_hi:[0,1]
	v_pk_add_f32 v[12:13], v[18:19], v[12:13] neg_lo:[0,1] neg_hi:[0,1]
	v_pk_fma_f32 v[16:17], v[90:91], 2.0, v[20:21] op_sel_hi:[1,0,1] neg_lo:[0,0,1] neg_hi:[0,0,1]
	v_pk_fma_f32 v[22:23], v[22:23], 2.0, v[76:77] op_sel_hi:[1,0,1] neg_lo:[0,0,1] neg_hi:[0,0,1]
	v_pk_add_f32 v[78:79], v[14:15], v[12:13] neg_lo:[0,1] neg_hi:[0,1]
	v_pk_add_f32 v[80:81], v[14:15], v[12:13]
	v_pk_mul_f32 v[20:21], v[16:17], s[0:1] op_sel_hi:[1,0]
	v_pk_fma_f32 v[16:17], v[16:17], s[0:1], v[22:23] op_sel_hi:[1,0,1] neg_lo:[1,0,0] neg_hi:[1,0,0]
	v_mov_b32_e32 v79, v81
	v_pk_add_f32 v[80:81], v[16:17], v[20:21] op_sel:[0,1] op_sel_hi:[1,0] neg_lo:[0,1] neg_hi:[0,1]
	v_pk_add_f32 v[16:17], v[16:17], v[20:21] op_sel:[0,1] op_sel_hi:[1,0]
	v_pk_fma_f32 v[12:13], v[18:19], 2.0, v[12:13] op_sel_hi:[1,0,1] neg_lo:[0,0,1] neg_hi:[0,0,1]
	v_mov_b32_e32 v81, v17
	v_pk_fma_f32 v[16:17], v[56:57], 2.0, v[14:15] op_sel_hi:[1,0,1] neg_lo:[0,0,1] neg_hi:[0,0,1]
	v_lshl_add_u64 v[64:65], v[64:65], 3, v[58:59]
	v_pk_add_f32 v[12:13], v[16:17], v[12:13] op_sel:[0,1] op_sel_hi:[1,0] neg_lo:[0,1] neg_hi:[0,1]
	v_pk_fma_f32 v[14:15], v[14:15], 2.0, v[78:79] op_sel_hi:[1,0,1] neg_lo:[0,0,1] neg_hi:[0,0,1]
	v_pk_fma_f32 v[16:17], v[16:17], 2.0, v[12:13] op_sel_hi:[1,0,1] neg_lo:[0,0,1] neg_hi:[0,0,1]
	global_store_dwordx2 v[60:61], v[16:17], off
	v_pk_fma_f32 v[16:17], v[22:23], 2.0, v[80:81] op_sel_hi:[1,0,1] neg_lo:[0,0,1] neg_hi:[0,0,1]
	v_lshl_add_u64 v[66:67], v[66:67], 3, v[58:59]
	global_store_dwordx2 v[62:63], v[16:17], off
	global_store_dwordx2 v[64:65], v[14:15], off
	v_pk_fma_f32 v[14:15], v[76:77], 2.0, v[84:85] op_sel_hi:[1,0,1] neg_lo:[0,0,1] neg_hi:[0,0,1]
	v_lshl_add_u64 v[68:69], v[68:69], 3, v[58:59]
	v_lshl_add_u64 v[70:71], v[70:71], 3, v[58:59]
	;; [unrolled: 1-line block ×4, first 2 shown]
	global_store_dwordx2 v[66:67], v[14:15], off
	global_store_dwordx2 v[68:69], v[12:13], off
	;; [unrolled: 1-line block ×5, first 2 shown]
	v_add_u32_e32 v12, 0x180, v88
	v_lshlrev_b32_e32 v13, 3, v12
	v_and_b32_e32 v12, 0x1ff, v12
	v_and_or_b32 v28, v13, s1, v12
	v_mad_u64_u32 v[12:13], s[2:3], s4, v28, 0
	v_mov_b32_e32 v14, v13
	v_mad_u64_u32 v[14:15], s[2:3], s5, v28, v[14:15]
	v_or_b32_e32 v17, 0x200, v28
	v_mov_b32_e32 v13, v14
	v_mad_u64_u32 v[14:15], s[2:3], s4, v17, 0
	v_mov_b32_e32 v16, v15
	v_mad_u64_u32 v[16:17], s[2:3], s5, v17, v[16:17]
	v_or_b32_e32 v19, 0x400, v28
	v_mov_b32_e32 v15, v16
	;; [unrolled: 5-line block ×7, first 2 shown]
	v_mad_u64_u32 v[60:61], s[2:3], s4, v28, 0
	v_mov_b32_e32 v26, v61
	v_mov_b32_e32 v36, v39
	;; [unrolled: 1-line block ×5, first 2 shown]
	v_mad_u64_u32 v[62:63], s[2:3], s5, v28, v[26:27]
	v_mov_b32_e32 v38, v6
	v_pk_mul_f32 v[6:7], v[10:11], v[52:53]
	v_mov_b32_e32 v28, v35
	v_mov_b32_e32 v35, v4
	;; [unrolled: 1-line block ×4, first 2 shown]
	v_pk_fma_f32 v[6:7], v[36:37], v[38:39], v[6:7] neg_lo:[0,0,1] neg_hi:[0,0,1]
	v_pk_mul_f32 v[38:39], v[38:39], v[52:53]
	v_mov_b32_e32 v34, v0
	v_pk_mul_f32 v[0:1], v[4:5], v[44:45]
	v_pk_fma_f32 v[10:11], v[36:37], v[10:11], v[38:39]
	v_pk_fma_f32 v[0:1], v[28:29], v[34:35], v[0:1] neg_lo:[0,0,1] neg_hi:[0,0,1]
	v_pk_mul_f32 v[34:35], v[34:35], v[44:45]
	v_mov_b32_e32 v36, v41
	v_pk_fma_f32 v[4:5], v[28:29], v[4:5], v[34:35]
	v_mov_b32_e32 v26, v27
	v_mov_b32_e32 v34, v27
	v_pk_mul_f32 v[36:37], v[2:3], v[36:37] op_sel_hi:[1,0]
	v_mov_b32_e32 v30, v33
	v_mov_b32_e32 v32, v8
	;; [unrolled: 1-line block ×5, first 2 shown]
	v_pk_fma_f32 v[26:27], v[26:27], v[2:3], v[36:37] op_sel:[0,0,1] op_sel_hi:[1,1,0] neg_lo:[0,0,1] neg_hi:[0,0,1]
	v_pk_fma_f32 v[2:3], v[34:35], v[2:3], v[36:37] op_sel:[0,0,1] op_sel_hi:[0,1,0]
	v_pk_mul_f32 v[8:9], v[42:43], v[46:47]
	v_pk_mul_f32 v[28:29], v[32:33], v[46:47]
	v_mov_b32_e32 v27, v3
	v_mov_b32_e32 v2, v24
	;; [unrolled: 1-line block ×3, first 2 shown]
	v_pk_fma_f32 v[8:9], v[30:31], v[32:33], v[8:9] neg_lo:[0,0,1] neg_hi:[0,0,1]
	v_pk_fma_f32 v[28:29], v[30:31], v[42:43], v[28:29]
	v_pk_add_f32 v[2:3], v[2:3], v[6:7] neg_lo:[0,1] neg_hi:[0,1]
	v_mov_b32_e32 v6, v25
	v_mov_b32_e32 v7, v27
	v_pk_add_f32 v[8:9], v[0:1], v[8:9] neg_lo:[0,1] neg_hi:[0,1]
	v_pk_add_f32 v[28:29], v[4:5], v[28:29] neg_lo:[0,1] neg_hi:[0,1]
	;; [unrolled: 1-line block ×3, first 2 shown]
	v_pk_add_f32 v[30:31], v[8:9], v[28:29] op_sel:[0,1] op_sel_hi:[1,0] neg_lo:[0,1] neg_hi:[0,1]
	v_pk_add_f32 v[32:33], v[8:9], v[28:29] op_sel:[0,1] op_sel_hi:[1,0]
	v_pk_add_f32 v[10:11], v[2:3], v[6:7] op_sel:[0,1] op_sel_hi:[1,0] neg_lo:[0,1] neg_hi:[0,1]
	v_pk_add_f32 v[34:35], v[2:3], v[6:7] op_sel:[0,1] op_sel_hi:[1,0]
	v_mov_b32_e32 v31, v33
	v_mov_b32_e32 v11, v35
	v_pk_mul_f32 v[32:33], v[30:31], s[0:1] op_sel_hi:[1,0]
	v_pk_fma_f32 v[34:35], v[30:31], s[0:1], v[10:11] op_sel_hi:[1,0,1]
	v_lshl_add_u64 v[12:13], v[12:13], 3, v[58:59]
	v_pk_add_f32 v[36:37], v[34:35], v[32:33] op_sel:[0,1] op_sel_hi:[1,0] neg_lo:[0,1] neg_hi:[0,1]
	v_pk_add_f32 v[32:33], v[34:35], v[32:33] op_sel:[0,1] op_sel_hi:[1,0]
	v_lshl_add_u64 v[14:15], v[14:15], 3, v[58:59]
	v_mov_b32_e32 v37, v33
	v_mov_b32_e32 v33, v6
	;; [unrolled: 1-line block ×4, first 2 shown]
	v_pk_fma_f32 v[2:3], v[26:27], 2.0, v[6:7] op_sel_hi:[1,0,1] neg_lo:[0,0,1] neg_hi:[0,0,1]
	v_mov_b32_e32 v6, v4
	v_mov_b32_e32 v7, v0
	;; [unrolled: 1-line block ×7, first 2 shown]
	v_pk_fma_f32 v[24:25], v[24:25], 2.0, v[32:33] op_sel_hi:[1,0,1] neg_lo:[0,0,1] neg_hi:[0,0,1]
	v_pk_fma_f32 v[6:7], v[6:7], 2.0, v[26:27] op_sel_hi:[1,0,1] neg_lo:[0,0,1] neg_hi:[0,0,1]
	;; [unrolled: 1-line block ×3, first 2 shown]
	v_pk_add_f32 v[2:3], v[24:25], v[2:3] neg_lo:[0,1] neg_hi:[0,1]
	v_pk_add_f32 v[0:1], v[6:7], v[0:1] neg_lo:[0,1] neg_hi:[0,1]
	v_mov_b32_e32 v9, v28
	v_pk_add_f32 v[4:5], v[2:3], v[0:1] neg_lo:[0,1] neg_hi:[0,1]
	v_pk_add_f32 v[26:27], v[2:3], v[0:1]
	v_pk_fma_f32 v[8:9], v[8:9], 2.0, v[30:31] op_sel_hi:[1,0,1] neg_lo:[0,0,1] neg_hi:[0,0,1]
	v_pk_fma_f32 v[28:29], v[32:33], 2.0, v[10:11] op_sel_hi:[1,0,1] neg_lo:[0,0,1] neg_hi:[0,0,1]
	v_mov_b32_e32 v5, v27
	v_pk_mul_f32 v[26:27], v[8:9], s[0:1] op_sel_hi:[1,0]
	v_pk_fma_f32 v[8:9], v[8:9], s[0:1], v[28:29] op_sel_hi:[1,0,1] neg_lo:[1,0,0] neg_hi:[1,0,0]
	v_pk_fma_f32 v[0:1], v[6:7], 2.0, v[0:1] op_sel_hi:[1,0,1] neg_lo:[0,0,1] neg_hi:[0,0,1]
	v_pk_add_f32 v[30:31], v[8:9], v[26:27] op_sel:[0,1] op_sel_hi:[1,0] neg_lo:[0,1] neg_hi:[0,1]
	v_pk_add_f32 v[8:9], v[8:9], v[26:27] op_sel:[0,1] op_sel_hi:[1,0]
	v_lshl_add_u64 v[16:17], v[16:17], 3, v[58:59]
	v_mov_b32_e32 v31, v9
	v_pk_fma_f32 v[8:9], v[24:25], 2.0, v[2:3] op_sel_hi:[1,0,1] neg_lo:[0,0,1] neg_hi:[0,0,1]
	v_pk_fma_f32 v[2:3], v[2:3], 2.0, v[4:5] op_sel_hi:[1,0,1] neg_lo:[0,0,1] neg_hi:[0,0,1]
	v_pk_add_f32 v[0:1], v[8:9], v[0:1] op_sel:[0,1] op_sel_hi:[1,0] neg_lo:[0,1] neg_hi:[0,1]
	v_lshl_add_u64 v[18:19], v[18:19], 3, v[58:59]
	v_pk_fma_f32 v[6:7], v[8:9], 2.0, v[0:1] op_sel_hi:[1,0,1] neg_lo:[0,0,1] neg_hi:[0,0,1]
	global_store_dwordx2 v[12:13], v[6:7], off
	v_pk_fma_f32 v[6:7], v[28:29], 2.0, v[30:31] op_sel_hi:[1,0,1] neg_lo:[0,0,1] neg_hi:[0,0,1]
	v_mov_b32_e32 v61, v62
	global_store_dwordx2 v[14:15], v[6:7], off
	global_store_dwordx2 v[16:17], v[2:3], off
	v_pk_fma_f32 v[2:3], v[10:11], 2.0, v[36:37] op_sel_hi:[1,0,1] neg_lo:[0,0,1] neg_hi:[0,0,1]
	v_lshl_add_u64 v[20:21], v[20:21], 3, v[58:59]
	v_lshl_add_u64 v[22:23], v[22:23], 3, v[58:59]
	;; [unrolled: 1-line block ×4, first 2 shown]
	global_store_dwordx2 v[18:19], v[2:3], off
	global_store_dwordx2 v[20:21], v[0:1], off
	;; [unrolled: 1-line block ×5, first 2 shown]
.LBB0_10:
	s_endpgm
	.section	.rodata,"a",@progbits
	.p2align	6, 0x0
	.amdhsa_kernel fft_rtc_fwd_len4096_factors_8_16_4_8_wgs_256_tpt_128_halfLds_dim3_sp_op_CI_CI_sbrr_dirReg
		.amdhsa_group_segment_fixed_size 0
		.amdhsa_private_segment_fixed_size 0
		.amdhsa_kernarg_size 96
		.amdhsa_user_sgpr_count 2
		.amdhsa_user_sgpr_dispatch_ptr 0
		.amdhsa_user_sgpr_queue_ptr 0
		.amdhsa_user_sgpr_kernarg_segment_ptr 1
		.amdhsa_user_sgpr_dispatch_id 0
		.amdhsa_user_sgpr_kernarg_preload_length 0
		.amdhsa_user_sgpr_kernarg_preload_offset 0
		.amdhsa_user_sgpr_private_segment_size 0
		.amdhsa_uses_dynamic_stack 0
		.amdhsa_enable_private_segment 0
		.amdhsa_system_sgpr_workgroup_id_x 1
		.amdhsa_system_sgpr_workgroup_id_y 0
		.amdhsa_system_sgpr_workgroup_id_z 0
		.amdhsa_system_sgpr_workgroup_info 0
		.amdhsa_system_vgpr_workitem_id 0
		.amdhsa_next_free_vgpr 148
		.amdhsa_next_free_sgpr 18
		.amdhsa_accum_offset 148
		.amdhsa_reserve_vcc 1
		.amdhsa_float_round_mode_32 0
		.amdhsa_float_round_mode_16_64 0
		.amdhsa_float_denorm_mode_32 3
		.amdhsa_float_denorm_mode_16_64 3
		.amdhsa_dx10_clamp 1
		.amdhsa_ieee_mode 1
		.amdhsa_fp16_overflow 0
		.amdhsa_tg_split 0
		.amdhsa_exception_fp_ieee_invalid_op 0
		.amdhsa_exception_fp_denorm_src 0
		.amdhsa_exception_fp_ieee_div_zero 0
		.amdhsa_exception_fp_ieee_overflow 0
		.amdhsa_exception_fp_ieee_underflow 0
		.amdhsa_exception_fp_ieee_inexact 0
		.amdhsa_exception_int_div_zero 0
	.end_amdhsa_kernel
	.text
.Lfunc_end0:
	.size	fft_rtc_fwd_len4096_factors_8_16_4_8_wgs_256_tpt_128_halfLds_dim3_sp_op_CI_CI_sbrr_dirReg, .Lfunc_end0-fft_rtc_fwd_len4096_factors_8_16_4_8_wgs_256_tpt_128_halfLds_dim3_sp_op_CI_CI_sbrr_dirReg
                                        ; -- End function
	.section	.AMDGPU.csdata,"",@progbits
; Kernel info:
; codeLenInByte = 14420
; NumSgprs: 24
; NumVgprs: 148
; NumAgprs: 0
; TotalNumVgprs: 148
; ScratchSize: 0
; MemoryBound: 0
; FloatMode: 240
; IeeeMode: 1
; LDSByteSize: 0 bytes/workgroup (compile time only)
; SGPRBlocks: 2
; VGPRBlocks: 18
; NumSGPRsForWavesPerEU: 24
; NumVGPRsForWavesPerEU: 148
; AccumOffset: 148
; Occupancy: 3
; WaveLimiterHint : 1
; COMPUTE_PGM_RSRC2:SCRATCH_EN: 0
; COMPUTE_PGM_RSRC2:USER_SGPR: 2
; COMPUTE_PGM_RSRC2:TRAP_HANDLER: 0
; COMPUTE_PGM_RSRC2:TGID_X_EN: 1
; COMPUTE_PGM_RSRC2:TGID_Y_EN: 0
; COMPUTE_PGM_RSRC2:TGID_Z_EN: 0
; COMPUTE_PGM_RSRC2:TIDIG_COMP_CNT: 0
; COMPUTE_PGM_RSRC3_GFX90A:ACCUM_OFFSET: 36
; COMPUTE_PGM_RSRC3_GFX90A:TG_SPLIT: 0
	.text
	.p2alignl 6, 3212836864
	.fill 256, 4, 3212836864
	.type	__hip_cuid_17bebf912f1605f5,@object ; @__hip_cuid_17bebf912f1605f5
	.section	.bss,"aw",@nobits
	.globl	__hip_cuid_17bebf912f1605f5
__hip_cuid_17bebf912f1605f5:
	.byte	0                               ; 0x0
	.size	__hip_cuid_17bebf912f1605f5, 1

	.ident	"AMD clang version 19.0.0git (https://github.com/RadeonOpenCompute/llvm-project roc-6.4.0 25133 c7fe45cf4b819c5991fe208aaa96edf142730f1d)"
	.section	".note.GNU-stack","",@progbits
	.addrsig
	.addrsig_sym __hip_cuid_17bebf912f1605f5
	.amdgpu_metadata
---
amdhsa.kernels:
  - .agpr_count:     0
    .args:
      - .actual_access:  read_only
        .address_space:  global
        .offset:         0
        .size:           8
        .value_kind:     global_buffer
      - .actual_access:  read_only
        .address_space:  global
        .offset:         8
        .size:           8
        .value_kind:     global_buffer
      - .actual_access:  read_only
        .address_space:  global
        .offset:         16
        .size:           8
        .value_kind:     global_buffer
      - .actual_access:  read_only
        .address_space:  global
        .offset:         24
        .size:           8
        .value_kind:     global_buffer
      - .offset:         32
        .size:           8
        .value_kind:     by_value
      - .actual_access:  read_only
        .address_space:  global
        .offset:         40
        .size:           8
        .value_kind:     global_buffer
      - .actual_access:  read_only
        .address_space:  global
        .offset:         48
        .size:           8
        .value_kind:     global_buffer
      - .offset:         56
        .size:           4
        .value_kind:     by_value
      - .actual_access:  read_only
        .address_space:  global
        .offset:         64
        .size:           8
        .value_kind:     global_buffer
      - .actual_access:  read_only
        .address_space:  global
        .offset:         72
        .size:           8
        .value_kind:     global_buffer
      - .actual_access:  read_only
        .address_space:  global
        .offset:         80
        .size:           8
        .value_kind:     global_buffer
      - .actual_access:  write_only
        .address_space:  global
        .offset:         88
        .size:           8
        .value_kind:     global_buffer
    .group_segment_fixed_size: 0
    .kernarg_segment_align: 8
    .kernarg_segment_size: 96
    .language:       OpenCL C
    .language_version:
      - 2
      - 0
    .max_flat_workgroup_size: 256
    .name:           fft_rtc_fwd_len4096_factors_8_16_4_8_wgs_256_tpt_128_halfLds_dim3_sp_op_CI_CI_sbrr_dirReg
    .private_segment_fixed_size: 0
    .sgpr_count:     24
    .sgpr_spill_count: 0
    .symbol:         fft_rtc_fwd_len4096_factors_8_16_4_8_wgs_256_tpt_128_halfLds_dim3_sp_op_CI_CI_sbrr_dirReg.kd
    .uniform_work_group_size: 1
    .uses_dynamic_stack: false
    .vgpr_count:     148
    .vgpr_spill_count: 0
    .wavefront_size: 64
amdhsa.target:   amdgcn-amd-amdhsa--gfx950
amdhsa.version:
  - 1
  - 2
...

	.end_amdgpu_metadata
